;; amdgpu-corpus repo=ROCm/rocFFT kind=compiled arch=gfx1201 opt=O3
	.text
	.amdgcn_target "amdgcn-amd-amdhsa--gfx1201"
	.amdhsa_code_object_version 6
	.protected	bluestein_single_fwd_len272_dim1_sp_op_CI_CI ; -- Begin function bluestein_single_fwd_len272_dim1_sp_op_CI_CI
	.globl	bluestein_single_fwd_len272_dim1_sp_op_CI_CI
	.p2align	8
	.type	bluestein_single_fwd_len272_dim1_sp_op_CI_CI,@function
bluestein_single_fwd_len272_dim1_sp_op_CI_CI: ; @bluestein_single_fwd_len272_dim1_sp_op_CI_CI
; %bb.0:
	s_load_b128 s[16:19], s[0:1], 0x28
	v_mul_u32_u24_e32 v1, 0xf10, v0
	s_mov_b32 s2, exec_lo
	s_delay_alu instid0(VALU_DEP_1) | instskip(NEXT) | instid1(VALU_DEP_1)
	v_lshrrev_b32_e32 v1, 16, v1
	v_mad_co_u64_u32 v[64:65], null, ttmp9, 7, v[1:2]
	v_mov_b32_e32 v65, 0
	s_wait_kmcnt 0x0
	s_delay_alu instid0(VALU_DEP_1)
	v_cmpx_gt_u64_e64 s[16:17], v[64:65]
	s_cbranch_execz .LBB0_10
; %bb.1:
	s_clause 0x1
	s_load_b128 s[8:11], s[0:1], 0x18
	s_load_b128 s[4:7], s[0:1], 0x0
	v_mul_lo_u16 v1, v1, 17
	v_mul_hi_u32 v33, 0x24924925, v64
                                        ; implicit-def: $vgpr97
	s_delay_alu instid0(VALU_DEP_2) | instskip(NEXT) | instid1(VALU_DEP_2)
	v_sub_nc_u16 v0, v0, v1
	v_sub_nc_u32_e32 v34, v64, v33
	s_delay_alu instid0(VALU_DEP_2) | instskip(NEXT) | instid1(VALU_DEP_2)
	v_and_b32_e32 v101, 0xffff, v0
	v_lshrrev_b32_e32 v34, 1, v34
	s_wait_kmcnt 0x0
	s_load_b128 s[12:15], s[8:9], 0x0
	s_load_b64 s[8:9], s[0:1], 0x38
	s_wait_kmcnt 0x0
	v_mad_co_u64_u32 v[1:2], null, s14, v64, 0
	v_mad_co_u64_u32 v[3:4], null, s12, v101, 0
	s_mul_u64 s[2:3], s[12:13], 0x88
	s_delay_alu instid0(VALU_DEP_1) | instskip(NEXT) | instid1(VALU_DEP_1)
	v_mad_co_u64_u32 v[5:6], null, s15, v64, v[2:3]
	v_mov_b32_e32 v2, v5
	v_lshlrev_b32_e32 v104, 3, v101
	s_delay_alu instid0(VALU_DEP_4)
	v_mad_co_u64_u32 v[6:7], null, s13, v101, v[4:5]
	s_clause 0x3
	global_load_b64 v[67:68], v104, s[4:5]
	global_load_b64 v[65:66], v104, s[4:5] offset:136
	global_load_b64 v[69:70], v104, s[4:5] offset:272
	;; [unrolled: 1-line block ×3, first 2 shown]
	v_add_nc_u32_e32 v33, v34, v33
	v_lshlrev_b64_e32 v[1:2], 3, v[1:2]
	s_clause 0x7
	global_load_b64 v[75:76], v104, s[4:5] offset:544
	global_load_b64 v[73:74], v104, s[4:5] offset:680
	;; [unrolled: 1-line block ×8, first 2 shown]
	v_lshrrev_b32_e32 v33, 2, v33
	v_add_co_u32 v1, vcc_lo, s18, v1
	v_add_co_ci_u32_e32 v2, vcc_lo, s19, v2, vcc_lo
	s_delay_alu instid0(VALU_DEP_3) | instskip(NEXT) | instid1(VALU_DEP_1)
	v_mul_lo_u32 v33, v33, 7
	v_sub_nc_u32_e32 v33, v64, v33
	s_delay_alu instid0(VALU_DEP_1) | instskip(NEXT) | instid1(VALU_DEP_1)
	v_mul_u32_u24_e32 v37, 0x110, v33
	v_dual_mov_b32 v4, v6 :: v_dual_lshlrev_b32 v103, 3, v37
	s_delay_alu instid0(VALU_DEP_1) | instskip(NEXT) | instid1(VALU_DEP_2)
	v_lshlrev_b64_e32 v[3:4], 3, v[3:4]
	v_lshl_add_u32 v105, v101, 7, v103
	s_delay_alu instid0(VALU_DEP_2) | instskip(SKIP_1) | instid1(VALU_DEP_3)
	v_add_co_u32 v1, vcc_lo, v1, v3
	s_wait_alu 0xfffd
	v_add_co_ci_u32_e32 v2, vcc_lo, v2, v4, vcc_lo
	s_delay_alu instid0(VALU_DEP_2) | instskip(SKIP_1) | instid1(VALU_DEP_2)
	v_add_co_u32 v3, vcc_lo, v1, s2
	s_wait_alu 0xfffd
	v_add_co_ci_u32_e32 v4, vcc_lo, s3, v2, vcc_lo
	global_load_b64 v[1:2], v[1:2], off
	v_add_co_u32 v5, vcc_lo, v3, s2
	s_wait_alu 0xfffd
	v_add_co_ci_u32_e32 v6, vcc_lo, s3, v4, vcc_lo
	s_delay_alu instid0(VALU_DEP_2) | instskip(SKIP_1) | instid1(VALU_DEP_2)
	v_add_co_u32 v7, vcc_lo, v5, s2
	s_wait_alu 0xfffd
	v_add_co_ci_u32_e32 v8, vcc_lo, s3, v6, vcc_lo
	s_delay_alu instid0(VALU_DEP_2) | instskip(SKIP_1) | instid1(VALU_DEP_2)
	;; [unrolled: 4-line block ×13, first 2 shown]
	v_add_co_u32 v31, vcc_lo, v29, s2
	s_wait_alu 0xfffd
	v_add_co_ci_u32_e32 v32, vcc_lo, s3, v30, vcc_lo
	v_cmp_gt_u16_e32 vcc_lo, 16, v0
	s_wait_loadcnt 0x0
	v_dual_mul_f32 v33, v2, v68 :: v_dual_lshlrev_b32 v0, 4, v101
	s_clause 0x1
	global_load_b64 v[95:96], v104, s[4:5] offset:1632
	global_load_b64 v[81:82], v104, s[4:5] offset:1768
	s_clause 0x3
	global_load_b64 v[3:4], v[3:4], off
	global_load_b64 v[5:6], v[5:6], off
	;; [unrolled: 1-line block ×14, first 2 shown]
	s_clause 0x1
	global_load_b64 v[91:92], v104, s[4:5] offset:1904
	global_load_b64 v[93:94], v104, s[4:5] offset:2040
	global_load_b64 v[31:32], v[31:32], off
	v_mul_f32_e32 v34, v1, v68
	v_fmac_f32_e32 v33, v1, v67
	v_add_nc_u32_e32 v102, v104, v103
	s_load_b128 s[0:3], s[10:11], 0x0
	v_add_co_u32 v99, s10, s4, v104
	v_fma_f32 v34, v2, v67, -v34
	v_add_co_ci_u32_e64 v100, null, s5, 0, s10
	s_wait_loadcnt 0x10
	v_mul_f32_e32 v1, v4, v66
	v_mul_f32_e32 v2, v3, v66
	s_wait_loadcnt 0xf
	v_mul_f32_e32 v35, v6, v70
	s_wait_loadcnt 0xc
	v_mul_f32_e32 v38, v11, v74
	v_fma_f32 v2, v4, v65, -v2
	v_mul_f32_e32 v4, v7, v72
	v_dual_mul_f32 v36, v5, v70 :: v_dual_fmac_f32 v1, v3, v65
	v_mul_f32_e32 v3, v8, v72
	v_fmac_f32_e32 v35, v5, v69
	v_mul_f32_e32 v5, v10, v76
	s_delay_alu instid0(VALU_DEP_4) | instskip(NEXT) | instid1(VALU_DEP_4)
	v_fma_f32 v36, v6, v69, -v36
	v_dual_mul_f32 v6, v9, v76 :: v_dual_fmac_f32 v3, v7, v71
	v_mul_f32_e32 v7, v12, v74
	v_fma_f32 v4, v8, v71, -v4
	v_fma_f32 v8, v12, v73, -v38
	s_delay_alu instid0(VALU_DEP_4)
	v_fma_f32 v6, v10, v75, -v6
	ds_store_2addr_b64 v102, v[33:34], v[1:2] offset1:17
	ds_store_2addr_b64 v102, v[35:36], v[3:4] offset0:34 offset1:51
	s_wait_loadcnt 0x7
	v_dual_fmac_f32 v7, v11, v73 :: v_dual_mul_f32 v10, v21, v88
	v_mul_f32_e32 v2, v13, v78
	v_fmac_f32_e32 v5, v9, v75
	v_mul_f32_e32 v1, v14, v78
	s_wait_loadcnt 0x6
	v_dual_mul_f32 v3, v16, v80 :: v_dual_mul_f32 v12, v23, v90
	v_mul_f32_e32 v4, v15, v80
	ds_store_2addr_b64 v102, v[5:6], v[7:8] offset0:68 offset1:85
	v_mul_f32_e32 v5, v18, v84
	v_mul_f32_e32 v6, v17, v84
	;; [unrolled: 1-line block ×3, first 2 shown]
	v_or_b32_e32 v33, v37, v101
	v_mul_f32_e32 v7, v20, v86
	v_mul_f32_e32 v9, v22, v88
	;; [unrolled: 1-line block ×3, first 2 shown]
	v_fma_f32 v2, v14, v77, -v2
	v_fmac_f32_e32 v3, v15, v79
	v_fma_f32 v4, v16, v79, -v4
	s_wait_loadcnt 0x5
	v_mul_f32_e32 v14, v25, v96
	s_wait_loadcnt 0x4
	v_dual_fmac_f32 v1, v13, v77 :: v_dual_mul_f32 v16, v27, v82
	v_mul_f32_e32 v13, v26, v96
	v_mul_f32_e32 v15, v28, v82
	v_fma_f32 v6, v18, v83, -v6
	v_fma_f32 v8, v20, v85, -v8
	s_wait_loadcnt 0x2
	v_mul_f32_e32 v18, v29, v92
	s_wait_loadcnt 0x0
	v_dual_mul_f32 v20, v31, v94 :: v_dual_fmac_f32 v5, v17, v83
	v_dual_mul_f32 v17, v30, v92 :: v_dual_lshlrev_b32 v106, 3, v33
	v_fmac_f32_e32 v7, v19, v85
	v_mul_f32_e32 v19, v32, v94
	v_fmac_f32_e32 v9, v21, v87
	v_fma_f32 v10, v22, v87, -v10
	v_fmac_f32_e32 v11, v23, v89
	v_fma_f32 v12, v24, v89, -v12
	;; [unrolled: 2-line block ×6, first 2 shown]
	ds_store_2addr_b64 v102, v[1:2], v[3:4] offset0:102 offset1:119
	ds_store_2addr_b64 v102, v[5:6], v[7:8] offset0:136 offset1:153
	;; [unrolled: 1-line block ×5, first 2 shown]
	global_wb scope:SCOPE_SE
	s_wait_dscnt 0x0
	s_wait_kmcnt 0x0
	s_barrier_signal -1
	s_barrier_wait -1
	global_inv scope:SCOPE_SE
	ds_load_2addr_b64 v[1:4], v102 offset1:17
	ds_load_2addr_b64 v[5:8], v102 offset0:136 offset1:153
	ds_load_2addr_b64 v[9:12], v102 offset0:68 offset1:85
	;; [unrolled: 1-line block ×7, first 2 shown]
	global_wb scope:SCOPE_SE
	s_wait_dscnt 0x0
	s_barrier_signal -1
	s_barrier_wait -1
	global_inv scope:SCOPE_SE
	v_dual_sub_f32 v5, v1, v5 :: v_dual_sub_f32 v8, v4, v8
	v_sub_f32_e32 v14, v10, v14
	v_sub_f32_e32 v16, v12, v16
	;; [unrolled: 1-line block ×6, first 2 shown]
	v_fma_f32 v10, v10, 2.0, -v14
	v_fma_f32 v18, v18, 2.0, -v22
	v_sub_f32_e32 v14, v5, v14
	v_fma_f32 v1, v1, 2.0, -v5
	v_fma_f32 v26, v26, 2.0, -v30
	v_sub_f32_e32 v21, v17, v21
	v_fma_f32 v20, v20, 2.0, -v24
	v_fma_f32 v28, v28, 2.0, -v32
	s_delay_alu instid0(VALU_DEP_4) | instskip(NEXT) | instid1(VALU_DEP_4)
	v_dual_sub_f32 v7, v3, v7 :: v_dual_sub_f32 v26, v18, v26
	v_sub_f32_e32 v30, v21, v30
	v_fma_f32 v17, v17, 2.0, -v21
	s_delay_alu instid0(VALU_DEP_4)
	v_sub_f32_e32 v28, v20, v28
	v_fma_f32 v5, v5, 2.0, -v14
	v_sub_f32_e32 v6, v2, v6
	v_fma_f32 v21, v21, 2.0, -v30
	;; [unrolled: 2-line block ×3, first 2 shown]
	v_fma_f32 v4, v4, 2.0, -v8
	v_fma_f32 v12, v12, 2.0, -v16
	v_fmamk_f32 v54, v21, 0xbf3504f3, v5
	v_sub_f32_e32 v29, v25, v29
	v_fma_f32 v11, v11, 2.0, -v15
	v_fma_f32 v2, v2, 2.0, -v6
	v_dual_sub_f32 v12, v4, v12 :: v_dual_sub_f32 v13, v9, v13
	s_delay_alu instid0(VALU_DEP_4) | instskip(NEXT) | instid1(VALU_DEP_4)
	v_fma_f32 v25, v25, 2.0, -v29
	v_sub_f32_e32 v11, v3, v11
	v_add_f32_e32 v29, v22, v29
	v_sub_f32_e32 v10, v2, v10
	v_fma_f32 v9, v9, 2.0, -v13
	v_fma_f32 v20, v20, 2.0, -v28
	v_sub_f32_e32 v28, v11, v28
	v_fma_f32 v22, v22, 2.0, -v29
	v_fma_f32 v18, v18, 2.0, -v26
	;; [unrolled: 3-line block ×3, first 2 shown]
	v_dual_fmac_f32 v54, 0xbf3504f3, v22 :: v_dual_sub_f32 v23, v19, v23
	s_delay_alu instid0(VALU_DEP_4) | instskip(NEXT) | instid1(VALU_DEP_3)
	v_sub_f32_e32 v26, v9, v26
	v_dual_sub_f32 v25, v17, v25 :: v_dual_sub_f32 v20, v4, v20
	v_fma_f32 v1, v1, 2.0, -v9
	s_delay_alu instid0(VALU_DEP_4) | instskip(NEXT) | instid1(VALU_DEP_3)
	v_dual_sub_f32 v32, v23, v32 :: v_dual_add_f32 v15, v8, v15
	v_fma_f32 v17, v17, 2.0, -v25
	v_sub_f32_e32 v18, v2, v18
	v_sub_f32_e32 v16, v7, v16
	v_fma_f32 v19, v19, 2.0, -v23
	v_fma_f32 v8, v8, 2.0, -v15
	v_dual_add_f32 v13, v6, v13 :: v_dual_fmamk_f32 v36, v28, 0x3f3504f3, v26
	s_delay_alu instid0(VALU_DEP_4) | instskip(SKIP_2) | instid1(VALU_DEP_4)
	v_fma_f32 v7, v7, 2.0, -v16
	v_fma_f32 v23, v23, 2.0, -v32
	;; [unrolled: 1-line block ×3, first 2 shown]
	v_dual_fmamk_f32 v34, v29, 0x3f3504f3, v13 :: v_dual_sub_f32 v31, v27, v31
	v_fma_f32 v9, v9, 2.0, -v26
	v_fma_f32 v11, v11, 2.0, -v28
	;; [unrolled: 1-line block ×3, first 2 shown]
	s_delay_alu instid0(VALU_DEP_4) | instskip(SKIP_1) | instid1(VALU_DEP_4)
	v_fmac_f32_e32 v34, 0x3f3504f3, v30
	v_fma_f32 v27, v27, 2.0, -v31
	v_dual_add_f32 v31, v24, v31 :: v_dual_fmamk_f32 v40, v11, 0xbf3504f3, v9
	v_fma_f32 v2, v2, 2.0, -v18
	v_fma_f32 v4, v4, 2.0, -v20
	s_delay_alu instid0(VALU_DEP_3) | instskip(SKIP_1) | instid1(VALU_DEP_2)
	v_fmamk_f32 v48, v31, 0x3f3504f3, v15
	v_fma_f32 v24, v24, 2.0, -v31
	v_dual_fmac_f32 v48, 0x3f3504f3, v32 :: v_dual_sub_f32 v17, v1, v17
	v_fmamk_f32 v33, v30, 0x3f3504f3, v14
	s_delay_alu instid0(VALU_DEP_3)
	v_fmamk_f32 v30, v24, 0xbf3504f3, v8
	v_fma_f32 v6, v6, 2.0, -v13
	v_add_f32_e32 v25, v10, v25
	v_fma_f32 v1, v1, 2.0, -v17
	v_dual_fmamk_f32 v35, v32, 0x3f3504f3, v16 :: v_dual_sub_f32 v44, v17, v20
	v_fmac_f32_e32 v33, 0xbf3504f3, v29
	v_fmamk_f32 v55, v22, 0xbf3504f3, v6
	v_fmac_f32_e32 v30, 0x3f3504f3, v23
	s_delay_alu instid0(VALU_DEP_4)
	v_fmac_f32_e32 v35, 0xbf3504f3, v31
	v_fma_f32 v10, v10, 2.0, -v25
	v_fma_f32 v14, v14, 2.0, -v33
	v_fmac_f32_e32 v55, 0x3f3504f3, v21
	v_fma_f32 v13, v13, 2.0, -v34
	v_fma_f32 v16, v16, 2.0, -v35
	v_sub_f32_e32 v27, v19, v27
	v_fma_f32 v15, v15, 2.0, -v48
	v_fma_f32 v6, v6, 2.0, -v55
	;; [unrolled: 1-line block ×3, first 2 shown]
	v_fmamk_f32 v42, v16, 0xbec3ef15, v14
	v_fma_f32 v19, v19, 2.0, -v27
	v_add_f32_e32 v27, v12, v27
	v_fmamk_f32 v39, v48, 0x3f6c835e, v34
	v_fmamk_f32 v47, v30, 0x3ec3ef15, v55
	;; [unrolled: 1-line block ×3, first 2 shown]
	v_dual_sub_f32 v49, v2, v4 :: v_dual_fmac_f32 v42, 0xbf6c835e, v15
	v_fmac_f32_e32 v36, 0xbf3504f3, v27
	v_fmamk_f32 v38, v35, 0x3f6c835e, v33
	v_fma_f32 v12, v12, 2.0, -v27
	v_fmamk_f32 v29, v23, 0xbf3504f3, v7
	v_fmamk_f32 v37, v27, 0x3f3504f3, v25
	v_fmac_f32_e32 v39, 0x3ec3ef15, v35
	v_fmac_f32_e32 v38, 0xbec3ef15, v48
	;; [unrolled: 1-line block ×4, first 2 shown]
	v_sub_f32_e32 v19, v3, v19
	v_fmamk_f32 v41, v12, 0xbf3504f3, v10
	v_fmac_f32_e32 v37, 0x3f3504f3, v28
	v_fma_f32 v52, v17, 2.0, -v44
	v_fmamk_f32 v46, v29, 0x3ec3ef15, v54
	v_fma_f32 v7, v7, 2.0, -v29
	v_fma_f32 v3, v3, 2.0, -v19
	v_add_f32_e32 v45, v18, v19
	v_fmac_f32_e32 v41, 0x3f3504f3, v11
	v_fmac_f32_e32 v46, 0xbf6c835e, v30
	v_fmamk_f32 v50, v7, 0xbf6c835e, v5
	v_dual_fmamk_f32 v43, v15, 0xbec3ef15, v13 :: v_dual_sub_f32 v48, v1, v3
	v_fmac_f32_e32 v47, 0x3f6c835e, v29
	v_fmac_f32_e32 v51, 0x3ec3ef15, v7
	s_delay_alu instid0(VALU_DEP_4) | instskip(NEXT) | instid1(VALU_DEP_4)
	v_fmac_f32_e32 v50, 0xbec3ef15, v8
	v_fmac_f32_e32 v43, 0x3f6c835e, v16
	v_fma_f32 v53, v18, 2.0, -v45
	v_fma_f32 v56, v26, 2.0, -v36
	;; [unrolled: 1-line block ×15, first 2 shown]
	ds_store_b128 v105, v[44:47] offset:96
	ds_store_b128 v105, v[36:39] offset:112
	;; [unrolled: 1-line block ×6, first 2 shown]
	ds_store_b128 v105, v[32:35]
	ds_store_b128 v105, v[60:63] offset:16
	global_wb scope:SCOPE_SE
	s_wait_dscnt 0x0
	s_barrier_signal -1
	s_barrier_wait -1
	global_inv scope:SCOPE_SE
	s_and_saveexec_b32 s10, vcc_lo
	s_cbranch_execz .LBB0_3
; %bb.2:
	ds_load_2addr_b64 v[32:35], v106 offset1:16
	ds_load_2addr_b64 v[60:63], v106 offset0:32 offset1:48
	ds_load_2addr_b64 v[52:55], v106 offset0:64 offset1:80
	;; [unrolled: 1-line block ×7, first 2 shown]
	ds_load_b64 v[97:98], v106 offset:2048
.LBB0_3:
	s_wait_alu 0xfffe
	s_or_b32 exec_lo, exec_lo, s10
	v_and_b32_e32 v0, 0xf0, v0
	s_delay_alu instid0(VALU_DEP_1)
	v_lshlrev_b32_e32 v28, 3, v0
	s_clause 0x7
	global_load_b128 v[20:23], v28, s[6:7]
	global_load_b128 v[12:15], v28, s[6:7] offset:16
	global_load_b128 v[8:11], v28, s[6:7] offset:32
	;; [unrolled: 1-line block ×7, first 2 shown]
	s_wait_loadcnt_dscnt 0x707
	v_dual_mul_f32 v111, v60, v23 :: v_dual_mul_f32 v122, v34, v21
	s_wait_loadcnt_dscnt 0x606
	v_mul_f32_e32 v113, v52, v15
	v_dual_mul_f32 v124, v61, v23 :: v_dual_mul_f32 v125, v63, v13
	s_wait_loadcnt_dscnt 0x505
	v_dual_mul_f32 v112, v62, v13 :: v_dual_mul_f32 v115, v56, v11
	s_wait_loadcnt_dscnt 0x101
	v_dual_mul_f32 v118, v50, v5 :: v_dual_mul_f32 v137, v37, v27
	v_dual_mul_f32 v136, v47, v25 :: v_dual_mul_f32 v109, v36, v27
	s_wait_loadcnt_dscnt 0x0
	v_dual_mul_f32 v110, v46, v25 :: v_dual_mul_f32 v107, v97, v31
	v_dual_mul_f32 v138, v39, v29 :: v_dual_mul_f32 v139, v98, v31
	;; [unrolled: 1-line block ×3, first 2 shown]
	v_mul_f32_e32 v127, v55, v9
	v_dual_mul_f32 v114, v54, v9 :: v_dual_mul_f32 v117, v48, v3
	v_dual_mul_f32 v116, v58, v1 :: v_dual_mul_f32 v119, v44, v19
	;; [unrolled: 1-line block ×3, first 2 shown]
	v_dual_fmac_f32 v122, v35, v20 :: v_dual_fmac_f32 v113, v53, v14
	v_fma_f32 v142, v60, v22, -v124
	v_fma_f32 v143, v62, v12, -v125
	v_dual_fmac_f32 v112, v63, v12 :: v_dual_fmac_f32 v115, v57, v10
	v_dual_fmac_f32 v118, v51, v4 :: v_dual_fmac_f32 v107, v98, v30
	;; [unrolled: 1-line block ×3, first 2 shown]
	v_fma_f32 v124, v36, v26, -v137
	v_fma_f32 v63, v38, v28, -v138
	v_dual_mul_f32 v128, v57, v11 :: v_dual_mul_f32 v129, v59, v1
	v_dual_mul_f32 v132, v41, v7 :: v_dual_mul_f32 v133, v43, v17
	v_dual_mul_f32 v108, v38, v29 :: v_dual_fmac_f32 v111, v61, v22
	v_fma_f32 v150, v34, v20, -v123
	v_fma_f32 v145, v54, v8, -v127
	v_dual_fmac_f32 v114, v55, v8 :: v_dual_fmac_f32 v117, v49, v2
	v_dual_fmac_f32 v116, v59, v0 :: v_dual_fmac_f32 v119, v45, v18
	v_fma_f32 v148, v48, v2, -v130
	v_fma_f32 v149, v50, v4, -v131
	;; [unrolled: 1-line block ×3, first 2 shown]
	v_dual_sub_f32 v152, v122, v107 :: v_dual_add_f32 v37, v112, v109
	v_dual_add_f32 v34, v142, v63 :: v_dual_sub_f32 v49, v112, v109
	v_dual_sub_f32 v54, v143, v124 :: v_dual_sub_f32 v51, v114, v119
	v_dual_mul_f32 v120, v40, v7 :: v_dual_mul_f32 v121, v42, v17
	v_fma_f32 v147, v58, v0, -v129
	v_fma_f32 v141, v40, v6, -v132
	;; [unrolled: 1-line block ×3, first 2 shown]
	v_dual_fmac_f32 v108, v39, v28 :: v_dual_add_f32 v151, v150, v62
	v_sub_f32_e32 v154, v150, v62
	v_dual_add_f32 v46, v148, v149 :: v_dual_mul_f32 v155, 0xbeb8f4ab, v152
	v_dual_mul_f32 v132, 0xbf65296c, v49 :: v_dual_mul_f32 v137, 0xbf65296c, v54
	v_fma_f32 v144, v52, v14, -v126
	v_dual_fmac_f32 v120, v41, v6 :: v_dual_add_f32 v153, v122, v107
	v_dual_add_f32 v35, v111, v108 :: v_dual_sub_f32 v52, v142, v63
	v_add_f32_e32 v39, v113, v110
	v_fma_f32 v138, 0x3ee437d1, v37, -v137
	v_fmamk_f32 v97, v151, 0x3f6eb680, v155
	v_mul_f32_e32 v156, 0xbeb8f4ab, v154
	v_dual_mul_f32 v134, v45, v19 :: v_dual_fmac_f32 v121, v43, v16
	v_fma_f32 v146, v56, v10, -v128
	v_dual_sub_f32 v56, v144, v129 :: v_dual_add_f32 v47, v117, v118
	v_dual_sub_f32 v60, v148, v149 :: v_dual_mul_f32 v139, 0xbf2c7751, v52
	v_add_f32_e32 v97, v32, v97
	v_fma_f32 v98, 0x3f6eb680, v153, -v156
	v_fma_f32 v140, v42, v16, -v133
	;; [unrolled: 1-line block ×3, first 2 shown]
	v_dual_sub_f32 v48, v111, v108 :: v_dual_add_f32 v41, v114, v119
	v_dual_sub_f32 v50, v113, v110 :: v_dual_add_f32 v43, v115, v121
	v_dual_mul_f32 v133, 0xbf7ee86f, v56 :: v_dual_add_f32 v98, v33, v98
	v_fma_f32 v131, 0x3f3d2fb0, v35, -v139
	v_dual_add_f32 v38, v144, v129 :: v_dual_sub_f32 v59, v146, v140
	v_dual_add_f32 v40, v145, v135 :: v_dual_sub_f32 v53, v115, v121
	v_mul_f32_e32 v136, 0xbf2c7751, v48
	v_mul_f32_e32 v127, 0xbf7ee86f, v50
	v_add_f32_e32 v98, v131, v98
	v_dual_add_f32 v36, v143, v124 :: v_dual_sub_f32 v57, v145, v135
	v_dual_add_f32 v42, v146, v140 :: v_dual_sub_f32 v61, v147, v141
	v_mul_f32_e32 v125, 0xbf763a35, v51
	v_dual_mul_f32 v123, 0xbf4c4adb, v53 :: v_dual_mul_f32 v130, 0xbf4c4adb, v59
	v_fmamk_f32 v131, v38, 0x3dbcf732, v127
	v_fmamk_f32 v126, v34, 0x3f3d2fb0, v136
	v_fma_f32 v157, 0x3dbcf732, v39, -v133
	v_dual_add_f32 v98, v138, v98 :: v_dual_sub_f32 v55, v116, v120
	v_sub_f32_e32 v58, v117, v118
	v_mul_f32_e32 v128, 0xbf763a35, v57
	s_delay_alu instid0(VALU_DEP_3)
	v_dual_add_f32 v97, v126, v97 :: v_dual_add_f32 v98, v157, v98
	v_fmamk_f32 v157, v42, 0xbf1a4643, v123
	v_fmamk_f32 v138, v40, 0xbe8c1d8e, v125
	;; [unrolled: 1-line block ×3, first 2 shown]
	v_mul_f32_e32 v126, 0xbf06c442, v55
	v_dual_add_f32 v44, v147, v141 :: v_dual_add_f32 v45, v116, v120
	v_fma_f32 v158, 0xbe8c1d8e, v41, -v128
	s_delay_alu instid0(VALU_DEP_4) | instskip(SKIP_2) | instid1(VALU_DEP_3)
	v_add_f32_e32 v97, v134, v97
	v_mul_f32_e32 v134, 0xbf06c442, v61
	v_fma_f32 v159, 0xbf1a4643, v43, -v130
	v_add_f32_e32 v97, v131, v97
	v_mul_f32_e32 v131, 0xbe3c28d5, v58
	s_delay_alu instid0(VALU_DEP_4) | instskip(NEXT) | instid1(VALU_DEP_3)
	v_fma_f32 v160, 0xbf59a7d5, v45, -v134
	v_dual_add_f32 v97, v138, v97 :: v_dual_mul_f32 v138, 0xbe3c28d5, v60
	s_delay_alu instid0(VALU_DEP_1) | instskip(NEXT) | instid1(VALU_DEP_4)
	v_add_f32_e32 v97, v157, v97
	v_fmamk_f32 v157, v46, 0xbf7ba420, v131
	v_add_f32_e32 v98, v158, v98
	v_fmamk_f32 v158, v44, 0xbf59a7d5, v126
	s_delay_alu instid0(VALU_DEP_1) | instskip(NEXT) | instid1(VALU_DEP_1)
	v_add_f32_e32 v97, v158, v97
	v_dual_add_f32 v97, v157, v97 :: v_dual_add_f32 v98, v159, v98
	v_fma_f32 v159, 0xbf7ba420, v47, -v138
	s_delay_alu instid0(VALU_DEP_2) | instskip(NEXT) | instid1(VALU_DEP_1)
	v_add_f32_e32 v98, v160, v98
	v_add_f32_e32 v98, v159, v98
	s_and_saveexec_b32 s6, vcc_lo
	s_cbranch_execz .LBB0_5
; %bb.4:
	v_mul_f32_e32 v157, 0x3f6eb680, v153
	v_mul_f32_e32 v166, 0xbf59a7d5, v153
	;; [unrolled: 1-line block ×5, first 2 shown]
	s_delay_alu instid0(VALU_DEP_4) | instskip(SKIP_4) | instid1(VALU_DEP_4)
	v_dual_add_f32 v163, v156, v157 :: v_dual_fmamk_f32 v160, v154, 0x3f06c442, v166
	v_mul_f32_e32 v156, 0x3f6eb680, v151
	v_mul_f32_e32 v170, 0x3ee437d1, v153
	v_fmac_f32_e32 v166, 0xbf06c442, v154
	v_mul_f32_e32 v165, 0xbf7ba420, v153
	v_dual_fmamk_f32 v157, v154, 0x3f7ee86f, v169 :: v_dual_sub_f32 v164, v156, v155
	v_fmamk_f32 v156, v154, 0x3f763a35, v168
	v_fmamk_f32 v155, v154, 0x3f4c4adb, v167
	v_fmac_f32_e32 v167, 0xbf4c4adb, v154
	v_fmac_f32_e32 v168, 0xbf763a35, v154
	v_fmamk_f32 v158, v154, 0x3f65296c, v170
	v_fmamk_f32 v159, v154, 0x3e3c28d5, v165
	v_fmac_f32_e32 v165, 0xbe3c28d5, v154
	v_fmac_f32_e32 v169, 0xbf7ee86f, v154
	;; [unrolled: 1-line block ×3, first 2 shown]
	v_dual_mul_f32 v154, 0xbf2c7751, v154 :: v_dual_mul_f32 v179, 0xbf2c7751, v152
	v_mul_f32_e32 v184, 0x3f06c442, v48
	v_mul_f32_e32 v198, 0x3eb8f4ab, v48
	v_mul_f32_e32 v195, 0xbf4c4adb, v58
	s_delay_alu instid0(VALU_DEP_4) | instskip(SKIP_4) | instid1(VALU_DEP_3)
	v_fmamk_f32 v171, v153, 0x3f3d2fb0, v154
	v_fma_f32 v172, 0x3f3d2fb0, v153, -v154
	v_mul_f32_e32 v153, 0xbe3c28d5, v152
	v_fma_f32 v183, 0x3f3d2fb0, v151, -v179
	v_dual_add_f32 v150, v32, v150 :: v_dual_add_f32 v163, v33, v163
	v_dual_add_f32 v164, v32, v164 :: v_dual_fmamk_f32 v173, v151, 0xbf7ba420, v153
	v_fma_f32 v174, 0xbf7ba420, v151, -v153
	v_dual_mul_f32 v153, 0xbf06c442, v152 :: v_dual_add_f32 v166, v33, v166
	v_add_f32_e32 v122, v33, v122
	v_mul_f32_e32 v205, 0x3f7ee86f, v58
	s_delay_alu instid0(VALU_DEP_3) | instskip(SKIP_3) | instid1(VALU_DEP_4)
	v_fmamk_f32 v161, v151, 0xbf59a7d5, v153
	v_fma_f32 v175, 0xbf59a7d5, v151, -v153
	v_mul_f32_e32 v153, 0xbf4c4adb, v152
	v_add_f32_e32 v111, v122, v111
	v_dual_add_f32 v122, v150, v142 :: v_dual_add_f32 v161, v32, v161
	v_add_f32_e32 v170, v33, v170
	s_delay_alu instid0(VALU_DEP_4)
	v_fmamk_f32 v162, v151, 0xbf1a4643, v153
	v_fma_f32 v176, 0xbf1a4643, v151, -v153
	v_mul_f32_e32 v153, 0xbf763a35, v152
	v_mul_f32_e32 v154, 0xbf65296c, v152
	v_add_f32_e32 v168, v33, v168
	v_dual_add_f32 v111, v111, v112 :: v_dual_add_f32 v112, v122, v143
	s_delay_alu instid0(VALU_DEP_4)
	v_fmamk_f32 v177, v151, 0xbe8c1d8e, v153
	v_fma_f32 v178, 0xbe8c1d8e, v151, -v153
	v_mul_f32_e32 v153, 0xbf7ee86f, v152
	v_fmamk_f32 v152, v151, 0x3ee437d1, v154
	v_fma_f32 v182, 0x3ee437d1, v151, -v154
	v_add_f32_e32 v154, v33, v158
	v_add_f32_e32 v112, v112, v144
	v_fma_f32 v181, 0x3dbcf732, v151, -v153
	v_dual_fmamk_f32 v180, v151, 0x3dbcf732, v153 :: v_dual_add_f32 v153, v32, v152
	v_add_f32_e32 v158, v33, v156
	v_dual_add_f32 v156, v33, v155 :: v_dual_add_f32 v155, v32, v162
	v_add_f32_e32 v162, v33, v160
	v_add_f32_e32 v152, v33, v157
	;; [unrolled: 1-line block ×4, first 2 shown]
	v_dual_add_f32 v177, v32, v181 :: v_dual_add_f32 v160, v33, v159
	v_add_f32_e32 v159, v32, v173
	v_add_f32_e32 v173, v32, v174
	;; [unrolled: 1-line block ×3, first 2 shown]
	v_dual_add_f32 v171, v33, v171 :: v_dual_add_f32 v112, v112, v145
	v_fmac_f32_e32 v179, 0x3f3d2fb0, v151
	v_add_f32_e32 v151, v32, v180
	v_dual_add_f32 v165, v33, v165 :: v_dual_add_f32 v180, v32, v183
	s_delay_alu instid0(VALU_DEP_4) | instskip(SKIP_2) | instid1(VALU_DEP_3)
	v_dual_add_f32 v112, v112, v146 :: v_dual_add_f32 v111, v111, v113
	v_add_f32_e32 v169, v33, v169
	v_dual_mul_f32 v122, 0x3ee437d1, v37 :: v_dual_add_f32 v33, v33, v172
	v_dual_add_f32 v112, v112, v147 :: v_dual_add_f32 v111, v111, v114
	v_mul_f32_e32 v172, 0xbeb8f4ab, v49
	s_delay_alu instid0(VALU_DEP_3) | instskip(NEXT) | instid1(VALU_DEP_3)
	v_add_f32_e32 v122, v137, v122
	v_dual_add_f32 v112, v112, v148 :: v_dual_add_f32 v111, v111, v115
	s_delay_alu instid0(VALU_DEP_1) | instskip(NEXT) | instid1(VALU_DEP_1)
	v_dual_add_f32 v112, v112, v149 :: v_dual_add_f32 v111, v111, v116
	v_add_f32_e32 v112, v112, v141
	s_delay_alu instid0(VALU_DEP_2) | instskip(NEXT) | instid1(VALU_DEP_2)
	v_add_f32_e32 v111, v111, v117
	v_dual_mul_f32 v141, 0x3f3d2fb0, v41 :: v_dual_add_f32 v112, v112, v140
	s_delay_alu instid0(VALU_DEP_1) | instskip(SKIP_2) | instid1(VALU_DEP_3)
	v_dual_add_f32 v111, v111, v118 :: v_dual_fmamk_f32 v142, v57, 0xbf2c7751, v141
	v_fmac_f32_e32 v141, 0x3f2c7751, v57
	v_mul_f32_e32 v140, 0xbf4c4adb, v48
	v_dual_add_f32 v112, v112, v135 :: v_dual_add_f32 v111, v111, v120
	s_delay_alu instid0(VALU_DEP_1) | instskip(NEXT) | instid1(VALU_DEP_1)
	v_add_f32_e32 v111, v111, v121
	v_add_f32_e32 v111, v111, v119
	;; [unrolled: 1-line block ×6, first 2 shown]
	v_dual_add_f32 v110, v111, v110 :: v_dual_add_f32 v111, v112, v129
	v_mul_f32_e32 v179, 0xbf2c7751, v53
	s_delay_alu instid0(VALU_DEP_2) | instskip(NEXT) | instid1(VALU_DEP_3)
	v_dual_mul_f32 v182, 0x3f65296c, v58 :: v_dual_add_f32 v109, v110, v109
	v_add_f32_e32 v110, v111, v124
	v_mul_f32_e32 v124, 0x3ee437d1, v36
	s_delay_alu instid0(VALU_DEP_3) | instskip(NEXT) | instid1(VALU_DEP_2)
	v_dual_mul_f32 v121, 0x3f3d2fb0, v34 :: v_dual_add_f32 v108, v109, v108
	v_dual_add_f32 v109, v110, v63 :: v_dual_sub_f32 v124, v124, v132
	s_delay_alu instid0(VALU_DEP_2) | instskip(NEXT) | instid1(VALU_DEP_2)
	v_dual_sub_f32 v121, v121, v136 :: v_dual_mul_f32 v132, 0xbf65296c, v51
	v_dual_add_f32 v63, v108, v107 :: v_dual_add_f32 v62, v109, v62
	s_delay_alu instid0(VALU_DEP_2) | instskip(SKIP_2) | instid1(VALU_DEP_1)
	v_dual_mul_f32 v136, 0x3f2c7751, v58 :: v_dual_add_f32 v121, v121, v164
	ds_store_b64 v106, v[62:63]
	v_dual_mul_f32 v62, 0xbf7ee86f, v52 :: v_dual_add_f32 v121, v124, v121
	v_dual_mul_f32 v124, 0x3dbcf732, v38 :: v_dual_fmamk_f32 v63, v35, 0x3dbcf732, v62
	s_delay_alu instid0(VALU_DEP_1) | instskip(NEXT) | instid1(VALU_DEP_2)
	v_sub_f32_e32 v124, v124, v127
	v_dual_add_f32 v106, v63, v171 :: v_dual_mul_f32 v63, 0xbf4c4adb, v54
	s_delay_alu instid0(VALU_DEP_2) | instskip(NEXT) | instid1(VALU_DEP_1)
	v_dual_add_f32 v121, v124, v121 :: v_dual_mul_f32 v124, 0xbe8c1d8e, v40
	v_dual_fmamk_f32 v107, v37, 0xbf1a4643, v63 :: v_dual_sub_f32 v124, v124, v125
	s_delay_alu instid0(VALU_DEP_1) | instskip(NEXT) | instid1(VALU_DEP_2)
	v_dual_add_f32 v108, v107, v106 :: v_dual_mul_f32 v107, 0xbf7ee86f, v48
	v_dual_add_f32 v121, v124, v121 :: v_dual_mul_f32 v124, 0xbf1a4643, v42
	s_delay_alu instid0(VALU_DEP_2) | instskip(NEXT) | instid1(VALU_DEP_1)
	v_fma_f32 v106, 0x3dbcf732, v34, -v107
	v_dual_sub_f32 v123, v124, v123 :: v_dual_add_f32 v110, v106, v180
	s_delay_alu instid0(VALU_DEP_1) | instskip(SKIP_2) | instid1(VALU_DEP_3)
	v_dual_mul_f32 v106, 0xbe3c28d5, v56 :: v_dual_add_f32 v121, v123, v121
	v_mul_f32_e32 v123, 0xbf59a7d5, v44
	v_mul_f32_e32 v180, 0xbe3c28d5, v55
	v_fmamk_f32 v109, v39, 0xbf7ba420, v106
	s_delay_alu instid0(VALU_DEP_3) | instskip(NEXT) | instid1(VALU_DEP_2)
	v_dual_sub_f32 v123, v123, v126 :: v_dual_mul_f32 v126, 0xbe3c28d5, v48
	v_add_f32_e32 v111, v109, v108
	v_mul_f32_e32 v109, 0xbf4c4adb, v49
	s_delay_alu instid0(VALU_DEP_3) | instskip(SKIP_1) | instid1(VALU_DEP_3)
	v_add_f32_e32 v123, v123, v121
	v_mul_f32_e32 v121, 0xbf7ba420, v46
	v_fma_f32 v108, 0xbf1a4643, v36, -v109
	s_delay_alu instid0(VALU_DEP_2) | instskip(NEXT) | instid1(VALU_DEP_2)
	v_sub_f32_e32 v124, v121, v131
	v_add_f32_e32 v110, v108, v110
	v_mul_f32_e32 v108, 0x3f06c442, v57
	s_delay_alu instid0(VALU_DEP_1) | instskip(NEXT) | instid1(VALU_DEP_1)
	v_fmamk_f32 v112, v41, 0xbf59a7d5, v108
	v_dual_add_f32 v112, v112, v111 :: v_dual_mul_f32 v111, 0xbe3c28d5, v50
	s_delay_alu instid0(VALU_DEP_1) | instskip(SKIP_1) | instid1(VALU_DEP_2)
	v_fma_f32 v113, 0xbf7ba420, v38, -v111
	v_fmac_f32_e32 v111, 0xbf7ba420, v38
	v_add_f32_e32 v114, v113, v110
	v_mul_f32_e32 v110, 0x3f763a35, v59
	v_fmac_f32_e32 v107, 0x3dbcf732, v34
	s_delay_alu instid0(VALU_DEP_2) | instskip(NEXT) | instid1(VALU_DEP_2)
	v_fmamk_f32 v113, v43, 0xbe8c1d8e, v110
	v_add_f32_e32 v32, v107, v32
	s_delay_alu instid0(VALU_DEP_2) | instskip(SKIP_1) | instid1(VALU_DEP_1)
	v_add_f32_e32 v115, v113, v112
	v_mul_f32_e32 v113, 0x3f06c442, v51
	v_fma_f32 v112, 0xbf59a7d5, v40, -v113
	s_delay_alu instid0(VALU_DEP_1) | instskip(SKIP_1) | instid1(VALU_DEP_1)
	v_add_f32_e32 v114, v112, v114
	v_mul_f32_e32 v112, 0x3f65296c, v61
	v_fmamk_f32 v116, v45, 0x3ee437d1, v112
	s_delay_alu instid0(VALU_DEP_1) | instskip(NEXT) | instid1(VALU_DEP_1)
	v_dual_add_f32 v116, v116, v115 :: v_dual_mul_f32 v115, 0x3f763a35, v53
	v_fma_f32 v117, 0xbe8c1d8e, v42, -v115
	s_delay_alu instid0(VALU_DEP_1) | instskip(NEXT) | instid1(VALU_DEP_1)
	v_dual_add_f32 v117, v117, v114 :: v_dual_mul_f32 v114, 0x3f65296c, v55
	v_fma_f32 v118, 0x3ee437d1, v44, -v114
	v_fmac_f32_e32 v114, 0x3ee437d1, v44
	s_delay_alu instid0(VALU_DEP_2) | instskip(NEXT) | instid1(VALU_DEP_1)
	v_dual_add_f32 v118, v118, v117 :: v_dual_mul_f32 v117, 0x3eb8f4ab, v60
	v_fmamk_f32 v119, v47, 0x3f6eb680, v117
	s_delay_alu instid0(VALU_DEP_1) | instskip(NEXT) | instid1(VALU_DEP_1)
	v_dual_add_f32 v119, v119, v116 :: v_dual_mul_f32 v116, 0x3eb8f4ab, v58
	v_fma_f32 v120, 0x3f6eb680, v46, -v116
	v_fmac_f32_e32 v116, 0x3f6eb680, v46
	s_delay_alu instid0(VALU_DEP_2) | instskip(SKIP_2) | instid1(VALU_DEP_2)
	v_add_f32_e32 v118, v120, v118
	v_mul_f32_e32 v120, 0x3f3d2fb0, v35
	v_fmac_f32_e32 v109, 0xbf1a4643, v36
	v_add_f32_e32 v120, v139, v120
	s_delay_alu instid0(VALU_DEP_2) | instskip(NEXT) | instid1(VALU_DEP_2)
	v_add_f32_e32 v32, v109, v32
	v_dual_fmac_f32 v113, 0xbf59a7d5, v40 :: v_dual_add_f32 v120, v120, v163
	v_mul_f32_e32 v163, 0xbf06c442, v58
	v_mul_f32_e32 v58, 0xbf763a35, v58
	s_delay_alu instid0(VALU_DEP_4) | instskip(NEXT) | instid1(VALU_DEP_4)
	v_dual_fmac_f32 v115, 0xbe8c1d8e, v42 :: v_dual_add_f32 v32, v111, v32
	v_add_f32_e32 v120, v122, v120
	v_mul_f32_e32 v122, 0x3dbcf732, v39
	s_delay_alu instid0(VALU_DEP_3) | instskip(NEXT) | instid1(VALU_DEP_2)
	v_add_f32_e32 v32, v113, v32
	v_dual_add_f32 v122, v133, v122 :: v_dual_mul_f32 v133, 0xbf06c442, v53
	s_delay_alu instid0(VALU_DEP_2) | instskip(NEXT) | instid1(VALU_DEP_2)
	v_add_f32_e32 v32, v115, v32
	v_add_f32_e32 v120, v122, v120
	v_mul_f32_e32 v122, 0xbe8c1d8e, v41
	s_delay_alu instid0(VALU_DEP_3) | instskip(NEXT) | instid1(VALU_DEP_2)
	v_add_f32_e32 v32, v114, v32
	v_add_f32_e32 v122, v128, v122
	v_mul_f32_e32 v128, 0x3f763a35, v49
	s_delay_alu instid0(VALU_DEP_3) | instskip(NEXT) | instid1(VALU_DEP_3)
	v_add_f32_e32 v32, v116, v32
	v_add_f32_e32 v120, v122, v120
	v_mul_f32_e32 v122, 0xbf1a4643, v43
	s_delay_alu instid0(VALU_DEP_1) | instskip(SKIP_1) | instid1(VALU_DEP_2)
	v_add_f32_e32 v122, v130, v122
	v_mul_f32_e32 v130, 0x3eb8f4ab, v50
	v_add_f32_e32 v120, v122, v120
	v_mul_f32_e32 v122, 0xbf59a7d5, v45
	s_delay_alu instid0(VALU_DEP_1) | instskip(SKIP_1) | instid1(VALU_DEP_2)
	v_add_f32_e32 v122, v134, v122
	v_mul_f32_e32 v134, 0x3f4c4adb, v55
	v_add_f32_e32 v120, v122, v120
	v_mul_f32_e32 v122, 0xbf7ba420, v47
	s_delay_alu instid0(VALU_DEP_1) | instskip(NEXT) | instid1(VALU_DEP_1)
	v_add_f32_e32 v122, v138, v122
	v_dual_add_f32 v121, v122, v120 :: v_dual_add_f32 v120, v124, v123
	v_lshl_add_u32 v122, v101, 3, v103
	ds_store_2addr_b64 v122, v[120:121], v[118:119] offset0:16 offset1:32
	v_mul_f32_e32 v118, 0xbf7ba420, v35
	v_mul_f32_e32 v119, 0xbe8c1d8e, v37
	;; [unrolled: 1-line block ×4, first 2 shown]
	s_delay_alu instid0(VALU_DEP_4)
	v_fmamk_f32 v123, v52, 0x3e3c28d5, v118
	v_fmac_f32_e32 v118, 0xbe3c28d5, v52
	v_fmamk_f32 v124, v54, 0xbf763a35, v119
	v_fmac_f32_e32 v119, 0x3f763a35, v54
	;; [unrolled: 2-line block ×3, first 2 shown]
	v_add_f32_e32 v118, v118, v169
	v_fmamk_f32 v138, v54, 0xbe3c28d5, v121
	v_fmac_f32_e32 v121, 0x3e3c28d5, v54
	s_delay_alu instid0(VALU_DEP_3) | instskip(NEXT) | instid1(VALU_DEP_1)
	v_dual_add_f32 v118, v119, v118 :: v_dual_mul_f32 v119, 0x3f6eb680, v39
	v_fmamk_f32 v125, v56, 0xbeb8f4ab, v119
	v_fmac_f32_e32 v119, 0x3eb8f4ab, v56
	s_delay_alu instid0(VALU_DEP_1) | instskip(SKIP_1) | instid1(VALU_DEP_1)
	v_add_f32_e32 v118, v119, v118
	v_fma_f32 v119, 0xbf7ba420, v34, -v126
	v_dual_add_f32 v118, v120, v118 :: v_dual_add_f32 v119, v119, v177
	v_fma_f32 v120, 0xbe8c1d8e, v36, -v128
	v_mul_f32_e32 v177, 0xbf06c442, v50
	s_delay_alu instid0(VALU_DEP_2) | instskip(SKIP_1) | instid1(VALU_DEP_1)
	v_add_f32_e32 v119, v120, v119
	v_mul_f32_e32 v120, 0xbf59a7d5, v43
	v_fmamk_f32 v129, v59, 0x3f06c442, v120
	v_fmac_f32_e32 v120, 0xbf06c442, v59
	s_delay_alu instid0(VALU_DEP_1) | instskip(SKIP_1) | instid1(VALU_DEP_1)
	v_add_f32_e32 v118, v120, v118
	v_fma_f32 v120, 0x3f6eb680, v38, -v130
	v_dual_add_f32 v119, v120, v119 :: v_dual_mul_f32 v120, 0xbf1a4643, v45
	s_delay_alu instid0(VALU_DEP_1) | instskip(SKIP_1) | instid1(VALU_DEP_1)
	v_fmamk_f32 v131, v61, 0xbf4c4adb, v120
	v_fmac_f32_e32 v120, 0x3f4c4adb, v61
	v_add_f32_e32 v118, v120, v118
	v_fma_f32 v120, 0x3ee437d1, v40, -v132
	s_delay_alu instid0(VALU_DEP_1) | instskip(SKIP_1) | instid1(VALU_DEP_1)
	v_add_f32_e32 v119, v120, v119
	v_fma_f32 v120, 0xbf59a7d5, v42, -v133
	v_add_f32_e32 v119, v120, v119
	v_fma_f32 v120, 0xbf1a4643, v44, -v134
	s_delay_alu instid0(VALU_DEP_1) | instskip(SKIP_1) | instid1(VALU_DEP_1)
	v_add_f32_e32 v120, v120, v119
	v_mul_f32_e32 v119, 0x3f3d2fb0, v47
	v_fmamk_f32 v135, v60, 0xbf2c7751, v119
	v_fmac_f32_e32 v119, 0x3f2c7751, v60
	s_delay_alu instid0(VALU_DEP_1) | instskip(SKIP_1) | instid1(VALU_DEP_1)
	v_add_f32_e32 v119, v119, v118
	v_fma_f32 v118, 0x3f3d2fb0, v46, -v136
	v_add_f32_e32 v118, v118, v120
	v_mul_f32_e32 v120, 0xbf1a4643, v35
	s_delay_alu instid0(VALU_DEP_1) | instskip(SKIP_1) | instid1(VALU_DEP_1)
	v_fmamk_f32 v137, v52, 0x3f4c4adb, v120
	v_fmac_f32_e32 v120, 0xbf4c4adb, v52
	v_add_f32_e32 v120, v120, v170
	v_mul_f32_e32 v170, 0x3f763a35, v48
	s_delay_alu instid0(VALU_DEP_2) | instskip(NEXT) | instid1(VALU_DEP_1)
	v_dual_add_f32 v120, v121, v120 :: v_dual_mul_f32 v121, 0xbe8c1d8e, v39
	v_fmamk_f32 v139, v56, 0xbf763a35, v121
	v_fmac_f32_e32 v121, 0x3f763a35, v56
	s_delay_alu instid0(VALU_DEP_1) | instskip(SKIP_1) | instid1(VALU_DEP_2)
	v_add_f32_e32 v120, v121, v120
	v_fma_f32 v121, 0xbf1a4643, v34, -v140
	v_dual_add_f32 v120, v141, v120 :: v_dual_mul_f32 v141, 0x3e3c28d5, v49
	s_delay_alu instid0(VALU_DEP_2) | instskip(NEXT) | instid1(VALU_DEP_2)
	v_dual_add_f32 v121, v121, v178 :: v_dual_mul_f32 v178, 0x3f7ee86f, v51
	v_fma_f32 v143, 0xbf7ba420, v36, -v141
	s_delay_alu instid0(VALU_DEP_1) | instskip(SKIP_1) | instid1(VALU_DEP_1)
	v_add_f32_e32 v121, v143, v121
	v_mul_f32_e32 v143, 0x3f6eb680, v43
	v_fmamk_f32 v144, v59, 0x3eb8f4ab, v143
	v_fmac_f32_e32 v143, 0xbeb8f4ab, v59
	s_delay_alu instid0(VALU_DEP_1) | instskip(NEXT) | instid1(VALU_DEP_1)
	v_dual_add_f32 v120, v143, v120 :: v_dual_mul_f32 v143, 0x3f763a35, v50
	v_fma_f32 v145, 0xbe8c1d8e, v38, -v143
	s_delay_alu instid0(VALU_DEP_1) | instskip(SKIP_1) | instid1(VALU_DEP_1)
	v_add_f32_e32 v121, v145, v121
	v_mul_f32_e32 v145, 0x3dbcf732, v45
	v_fmamk_f32 v146, v61, 0x3f7ee86f, v145
	v_fmac_f32_e32 v145, 0xbf7ee86f, v61
	s_delay_alu instid0(VALU_DEP_1) | instskip(NEXT) | instid1(VALU_DEP_1)
	v_dual_add_f32 v120, v145, v120 :: v_dual_mul_f32 v145, 0x3f2c7751, v51
	v_fma_f32 v147, 0x3f3d2fb0, v40, -v145
	s_delay_alu instid0(VALU_DEP_1) | instskip(SKIP_1) | instid1(VALU_DEP_1)
	v_add_f32_e32 v121, v147, v121
	v_mul_f32_e32 v147, 0xbeb8f4ab, v53
	v_fma_f32 v148, 0x3f6eb680, v42, -v147
	s_delay_alu instid0(VALU_DEP_1) | instskip(NEXT) | instid1(VALU_DEP_1)
	v_dual_add_f32 v121, v148, v121 :: v_dual_mul_f32 v148, 0xbf7ee86f, v55
	v_fma_f32 v149, 0x3dbcf732, v44, -v148
	s_delay_alu instid0(VALU_DEP_1) | instskip(SKIP_1) | instid1(VALU_DEP_1)
	v_add_f32_e32 v149, v149, v121
	v_mul_f32_e32 v121, 0xbf59a7d5, v47
	v_fmamk_f32 v150, v60, 0x3f06c442, v121
	v_fmac_f32_e32 v121, 0xbf06c442, v60
	s_delay_alu instid0(VALU_DEP_1) | instskip(SKIP_1) | instid1(VALU_DEP_1)
	v_add_f32_e32 v121, v121, v120
	v_fma_f32 v120, 0xbf59a7d5, v46, -v163
	v_add_f32_e32 v120, v120, v149
	ds_store_2addr_b64 v122, v[120:121], v[118:119] offset0:48 offset1:64
	v_mul_f32_e32 v118, 0xbe8c1d8e, v35
	v_dual_mul_f32 v120, 0x3f3d2fb0, v43 :: v_dual_mul_f32 v121, 0x3f3d2fb0, v37
	s_delay_alu instid0(VALU_DEP_2) | instskip(SKIP_1) | instid1(VALU_DEP_3)
	v_fmamk_f32 v149, v52, 0xbf763a35, v118
	v_fmac_f32_e32 v118, 0x3f763a35, v52
	v_fmamk_f32 v171, v59, 0x3f2c7751, v120
	v_fmac_f32_e32 v120, 0xbf2c7751, v59
	s_delay_alu instid0(VALU_DEP_3) | instskip(NEXT) | instid1(VALU_DEP_1)
	v_dual_mul_f32 v119, 0x3f6eb680, v37 :: v_dual_add_f32 v118, v118, v167
	v_fmamk_f32 v164, v54, 0x3eb8f4ab, v119
	v_fmac_f32_e32 v119, 0xbeb8f4ab, v54
	s_delay_alu instid0(VALU_DEP_1) | instskip(NEXT) | instid1(VALU_DEP_1)
	v_dual_add_f32 v118, v119, v118 :: v_dual_mul_f32 v119, 0xbf59a7d5, v39
	v_fmamk_f32 v167, v56, 0x3f06c442, v119
	v_fmac_f32_e32 v119, 0xbf06c442, v56
	s_delay_alu instid0(VALU_DEP_1) | instskip(NEXT) | instid1(VALU_DEP_1)
	v_dual_add_f32 v118, v119, v118 :: v_dual_mul_f32 v119, 0x3dbcf732, v41
	v_fmamk_f32 v169, v57, 0xbf7ee86f, v119
	v_fmac_f32_e32 v119, 0x3f7ee86f, v57
	s_delay_alu instid0(VALU_DEP_1) | instskip(SKIP_1) | instid1(VALU_DEP_1)
	v_add_f32_e32 v118, v119, v118
	v_fma_f32 v119, 0xbe8c1d8e, v34, -v170
	v_dual_add_f32 v118, v120, v118 :: v_dual_add_f32 v119, v119, v175
	v_fma_f32 v120, 0x3f6eb680, v36, -v172
	s_delay_alu instid0(VALU_DEP_1) | instskip(NEXT) | instid1(VALU_DEP_1)
	v_dual_add_f32 v119, v120, v119 :: v_dual_mul_f32 v120, 0xbf7ba420, v45
	v_fmamk_f32 v175, v61, 0x3e3c28d5, v120
	v_fmac_f32_e32 v120, 0xbe3c28d5, v61
	s_delay_alu instid0(VALU_DEP_1) | instskip(SKIP_1) | instid1(VALU_DEP_1)
	v_add_f32_e32 v118, v120, v118
	v_fma_f32 v120, 0xbf59a7d5, v38, -v177
	v_add_f32_e32 v119, v120, v119
	v_fma_f32 v120, 0x3dbcf732, v40, -v178
	s_delay_alu instid0(VALU_DEP_1) | instskip(SKIP_1) | instid1(VALU_DEP_1)
	v_add_f32_e32 v119, v120, v119
	v_fma_f32 v120, 0x3f3d2fb0, v42, -v179
	v_add_f32_e32 v119, v120, v119
	v_fma_f32 v120, 0xbf7ba420, v44, -v180
	s_delay_alu instid0(VALU_DEP_1) | instskip(SKIP_1) | instid1(VALU_DEP_1)
	v_add_f32_e32 v120, v120, v119
	v_mul_f32_e32 v119, 0x3ee437d1, v47
	v_fmamk_f32 v181, v60, 0xbf65296c, v119
	v_fmac_f32_e32 v119, 0x3f65296c, v60
	s_delay_alu instid0(VALU_DEP_1) | instskip(SKIP_1) | instid1(VALU_DEP_1)
	v_add_f32_e32 v119, v119, v118
	v_fma_f32 v118, 0x3ee437d1, v46, -v182
	v_add_f32_e32 v118, v118, v120
	v_mul_f32_e32 v120, 0xbf59a7d5, v35
	s_delay_alu instid0(VALU_DEP_1) | instskip(SKIP_1) | instid1(VALU_DEP_1)
	v_fmamk_f32 v183, v52, 0xbf06c442, v120
	v_fmac_f32_e32 v120, 0x3f06c442, v52
	v_add_f32_e32 v120, v120, v168
	v_fmamk_f32 v168, v54, 0xbf2c7751, v121
	v_fmac_f32_e32 v121, 0x3f2c7751, v54
	s_delay_alu instid0(VALU_DEP_1) | instskip(SKIP_1) | instid1(VALU_DEP_1)
	v_add_f32_e32 v120, v121, v120
	v_fma_f32 v121, 0xbf59a7d5, v34, -v184
	v_dual_add_f32 v121, v121, v176 :: v_dual_mul_f32 v176, 0x3ee437d1, v39
	s_delay_alu instid0(VALU_DEP_1) | instskip(SKIP_1) | instid1(VALU_DEP_1)
	v_fmamk_f32 v185, v56, 0x3f65296c, v176
	v_fmac_f32_e32 v176, 0xbf65296c, v56
	v_add_f32_e32 v120, v176, v120
	v_mul_f32_e32 v176, 0x3f2c7751, v49
	s_delay_alu instid0(VALU_DEP_1) | instskip(NEXT) | instid1(VALU_DEP_1)
	v_fma_f32 v186, 0x3f3d2fb0, v36, -v176
	v_add_f32_e32 v121, v186, v121
	v_mul_f32_e32 v186, 0xbf7ba420, v41
	s_delay_alu instid0(VALU_DEP_1) | instskip(SKIP_1) | instid1(VALU_DEP_1)
	v_fmamk_f32 v187, v57, 0x3e3c28d5, v186
	v_fmac_f32_e32 v186, 0xbe3c28d5, v57
	v_add_f32_e32 v120, v186, v120
	v_mul_f32_e32 v186, 0xbf65296c, v50
	s_delay_alu instid0(VALU_DEP_1) | instskip(NEXT) | instid1(VALU_DEP_1)
	v_fma_f32 v188, 0x3ee437d1, v38, -v186
	v_dual_add_f32 v121, v188, v121 :: v_dual_mul_f32 v188, 0x3dbcf732, v43
	s_delay_alu instid0(VALU_DEP_1) | instskip(SKIP_1) | instid1(VALU_DEP_1)
	v_fmamk_f32 v189, v59, 0xbf7ee86f, v188
	v_fmac_f32_e32 v188, 0x3f7ee86f, v59
	v_add_f32_e32 v120, v188, v120
	v_mul_f32_e32 v188, 0xbe3c28d5, v51
	s_delay_alu instid0(VALU_DEP_1) | instskip(NEXT) | instid1(VALU_DEP_1)
	v_fma_f32 v190, 0xbf7ba420, v40, -v188
	v_add_f32_e32 v121, v190, v121
	v_mul_f32_e32 v190, 0x3f6eb680, v45
	s_delay_alu instid0(VALU_DEP_1) | instskip(SKIP_1) | instid1(VALU_DEP_1)
	v_fmamk_f32 v191, v61, 0x3eb8f4ab, v190
	v_fmac_f32_e32 v190, 0xbeb8f4ab, v61
	v_add_f32_e32 v120, v190, v120
	v_mul_f32_e32 v190, 0x3f7ee86f, v53
	s_delay_alu instid0(VALU_DEP_1) | instskip(NEXT) | instid1(VALU_DEP_1)
	v_fma_f32 v192, 0x3dbcf732, v42, -v190
	v_dual_add_f32 v121, v192, v121 :: v_dual_mul_f32 v192, 0xbeb8f4ab, v55
	s_delay_alu instid0(VALU_DEP_1) | instskip(NEXT) | instid1(VALU_DEP_1)
	v_fma_f32 v193, 0x3f6eb680, v44, -v192
	v_add_f32_e32 v193, v193, v121
	v_mul_f32_e32 v121, 0xbf1a4643, v47
	s_delay_alu instid0(VALU_DEP_1) | instskip(SKIP_1) | instid1(VALU_DEP_1)
	v_fmamk_f32 v194, v60, 0x3f4c4adb, v121
	v_fmac_f32_e32 v121, 0xbf4c4adb, v60
	v_add_f32_e32 v121, v121, v120
	v_fma_f32 v120, 0xbf1a4643, v46, -v195
	s_delay_alu instid0(VALU_DEP_1) | instskip(SKIP_3) | instid1(VALU_DEP_2)
	v_add_f32_e32 v120, v120, v193
	ds_store_2addr_b64 v122, v[120:121], v[118:119] offset0:80 offset1:96
	v_mul_f32_e32 v118, 0x3f6eb680, v35
	v_mul_f32_e32 v119, 0xbf59a7d5, v37
	v_fmamk_f32 v120, v52, 0xbeb8f4ab, v118
	v_fmac_f32_e32 v118, 0x3eb8f4ab, v52
	s_delay_alu instid0(VALU_DEP_3) | instskip(NEXT) | instid1(VALU_DEP_2)
	v_fmamk_f32 v121, v54, 0x3f06c442, v119
	v_dual_fmac_f32 v119, 0xbf06c442, v54 :: v_dual_add_f32 v118, v118, v165
	s_delay_alu instid0(VALU_DEP_1) | instskip(NEXT) | instid1(VALU_DEP_1)
	v_dual_add_f32 v118, v119, v118 :: v_dual_mul_f32 v119, 0x3f3d2fb0, v39
	v_fmamk_f32 v165, v56, 0xbf2c7751, v119
	v_fmac_f32_e32 v119, 0x3f2c7751, v56
	s_delay_alu instid0(VALU_DEP_1) | instskip(NEXT) | instid1(VALU_DEP_1)
	v_dual_add_f32 v118, v119, v118 :: v_dual_mul_f32 v119, 0xbf1a4643, v41
	v_fmamk_f32 v193, v57, 0x3f4c4adb, v119
	v_fmac_f32_e32 v119, 0xbf4c4adb, v57
	;; [unrolled: 4-line block ×4, first 2 shown]
	s_delay_alu instid0(VALU_DEP_1) | instskip(SKIP_1) | instid1(VALU_DEP_1)
	v_add_f32_e32 v118, v119, v118
	v_fma_f32 v119, 0x3f6eb680, v34, -v198
	v_add_f32_e32 v119, v119, v173
	v_mul_f32_e32 v173, 0xbf06c442, v49
	s_delay_alu instid0(VALU_DEP_1) | instskip(NEXT) | instid1(VALU_DEP_1)
	v_fma_f32 v199, 0xbf59a7d5, v36, -v173
	v_add_f32_e32 v119, v199, v119
	v_mul_f32_e32 v199, 0x3f2c7751, v50
	v_mul_f32_e32 v50, 0x3f4c4adb, v50
	s_delay_alu instid0(VALU_DEP_2) | instskip(NEXT) | instid1(VALU_DEP_1)
	v_fma_f32 v200, 0x3f3d2fb0, v38, -v199
	v_add_f32_e32 v119, v200, v119
	v_mul_f32_e32 v200, 0xbf4c4adb, v51
	v_mul_f32_e32 v51, 0xbeb8f4ab, v51
	s_delay_alu instid0(VALU_DEP_2) | instskip(NEXT) | instid1(VALU_DEP_1)
	;; [unrolled: 5-line block ×3, first 2 shown]
	v_fma_f32 v202, 0x3ee437d1, v42, -v201
	v_add_f32_e32 v119, v202, v119
	v_mul_f32_e32 v202, 0xbf763a35, v55
	s_delay_alu instid0(VALU_DEP_1) | instskip(NEXT) | instid1(VALU_DEP_1)
	v_fma_f32 v203, 0xbe8c1d8e, v44, -v202
	v_add_f32_e32 v203, v203, v119
	v_mul_f32_e32 v119, 0x3dbcf732, v47
	s_delay_alu instid0(VALU_DEP_1) | instskip(SKIP_1) | instid1(VALU_DEP_1)
	v_fmamk_f32 v204, v60, 0xbf7ee86f, v119
	v_fmac_f32_e32 v119, 0x3f7ee86f, v60
	v_add_f32_e32 v119, v119, v118
	v_fma_f32 v118, 0x3dbcf732, v46, -v205
	s_delay_alu instid0(VALU_DEP_1) | instskip(SKIP_2) | instid1(VALU_DEP_2)
	v_add_f32_e32 v118, v118, v203
	v_mul_f32_e32 v203, 0x3ee437d1, v35
	v_fma_f32 v35, 0x3dbcf732, v35, -v62
	v_fmamk_f32 v206, v52, 0xbf65296c, v203
	v_fmac_f32_e32 v203, 0x3f65296c, v52
	s_delay_alu instid0(VALU_DEP_3) | instskip(NEXT) | instid1(VALU_DEP_2)
	v_add_f32_e32 v33, v35, v33
	v_add_f32_e32 v52, v203, v166
	v_mul_f32_e32 v166, 0x3dbcf732, v37
	s_delay_alu instid0(VALU_DEP_1) | instskip(SKIP_2) | instid1(VALU_DEP_2)
	v_fmamk_f32 v203, v54, 0x3f7ee86f, v166
	v_fmac_f32_e32 v166, 0xbf7ee86f, v54
	v_mul_f32_e32 v54, 0xbf1a4643, v39
	v_add_f32_e32 v52, v166, v52
	s_delay_alu instid0(VALU_DEP_2) | instskip(SKIP_1) | instid1(VALU_DEP_1)
	v_fmamk_f32 v166, v56, 0xbf4c4adb, v54
	v_fmac_f32_e32 v54, 0x3f4c4adb, v56
	v_add_f32_e32 v52, v54, v52
	v_mul_f32_e32 v54, 0x3f6eb680, v41
	s_delay_alu instid0(VALU_DEP_1) | instskip(SKIP_1) | instid1(VALU_DEP_1)
	v_fmamk_f32 v56, v57, 0x3eb8f4ab, v54
	v_fmac_f32_e32 v54, 0xbeb8f4ab, v57
	v_add_f32_e32 v52, v54, v52
	v_mul_f32_e32 v54, 0xbf7ba420, v43
	s_delay_alu instid0(VALU_DEP_1) | instskip(SKIP_1) | instid1(VALU_DEP_1)
	v_fmamk_f32 v57, v59, 0x3e3c28d5, v54
	v_fmac_f32_e32 v54, 0xbe3c28d5, v59
	v_add_f32_e32 v52, v54, v52
	v_mul_f32_e32 v54, 0x3f3d2fb0, v45
	s_delay_alu instid0(VALU_DEP_1) | instskip(SKIP_2) | instid1(VALU_DEP_2)
	v_fmamk_f32 v59, v61, 0xbf2c7751, v54
	v_fmac_f32_e32 v54, 0x3f2c7751, v61
	v_mul_f32_e32 v61, 0x3f65296c, v48
	v_add_f32_e32 v52, v54, v52
	s_delay_alu instid0(VALU_DEP_2) | instskip(SKIP_1) | instid1(VALU_DEP_2)
	v_fma_f32 v48, 0x3ee437d1, v34, -v61
	v_mul_f32_e32 v54, 0xbf7ee86f, v49
	v_add_f32_e32 v48, v48, v174
	s_delay_alu instid0(VALU_DEP_2) | instskip(NEXT) | instid1(VALU_DEP_1)
	v_fma_f32 v49, 0x3dbcf732, v36, -v54
	v_add_f32_e32 v48, v49, v48
	v_fma_f32 v49, 0xbf1a4643, v38, -v50
	v_fmamk_f32 v50, v38, 0xbf1a4643, v50
	s_delay_alu instid0(VALU_DEP_2) | instskip(NEXT) | instid1(VALU_DEP_1)
	v_dual_add_f32 v48, v49, v48 :: v_dual_mul_f32 v49, 0xbe8c1d8e, v47
	v_fmamk_f32 v174, v60, 0x3f763a35, v49
	v_fmac_f32_e32 v49, 0xbf763a35, v60
	v_fma_f32 v60, 0x3f6eb680, v40, -v51
	s_delay_alu instid0(VALU_DEP_2) | instskip(NEXT) | instid1(VALU_DEP_2)
	v_add_f32_e32 v49, v49, v52
	v_add_f32_e32 v48, v60, v48
	v_fma_f32 v60, 0xbf7ba420, v42, -v53
	v_mul_f32_e32 v55, 0x3f2c7751, v55
	v_fma_f32 v52, 0xbe8c1d8e, v46, -v58
	s_delay_alu instid0(VALU_DEP_3) | instskip(NEXT) | instid1(VALU_DEP_3)
	v_add_f32_e32 v48, v60, v48
	v_fma_f32 v60, 0x3f3d2fb0, v44, -v55
	s_delay_alu instid0(VALU_DEP_1) | instskip(SKIP_1) | instid1(VALU_DEP_2)
	v_add_f32_e32 v48, v60, v48
	v_fmamk_f32 v60, v36, 0xbe8c1d8e, v128
	v_add_f32_e32 v48, v52, v48
	v_fmamk_f32 v52, v36, 0x3dbcf732, v54
	v_fmamk_f32 v54, v36, 0x3f3d2fb0, v176
	ds_store_2addr_b64 v122, v[48:49], v[118:119] offset0:112 offset1:128
	v_add_f32_e32 v48, v206, v162
	v_fmamk_f32 v49, v34, 0x3ee437d1, v61
	s_delay_alu instid0(VALU_DEP_2) | instskip(NEXT) | instid1(VALU_DEP_1)
	v_dual_fmamk_f32 v61, v46, 0x3f3d2fb0, v136 :: v_dual_add_f32 v48, v203, v48
	v_dual_add_f32 v49, v49, v161 :: v_dual_add_f32 v48, v166, v48
	s_delay_alu instid0(VALU_DEP_1) | instskip(SKIP_1) | instid1(VALU_DEP_2)
	v_add_f32_e32 v49, v52, v49
	v_fmamk_f32 v52, v36, 0xbf59a7d5, v173
	v_dual_add_f32 v48, v56, v48 :: v_dual_add_f32 v49, v50, v49
	v_fmamk_f32 v50, v40, 0x3f6eb680, v51
	v_fmamk_f32 v51, v46, 0xbe8c1d8e, v58
	;; [unrolled: 1-line block ×3, first 2 shown]
	s_delay_alu instid0(VALU_DEP_4) | instskip(NEXT) | instid1(VALU_DEP_4)
	v_dual_add_f32 v48, v57, v48 :: v_dual_fmamk_f32 v57, v46, 0x3ee437d1, v182
	v_add_f32_e32 v49, v50, v49
	v_fmamk_f32 v50, v42, 0xbf7ba420, v53
	s_delay_alu instid0(VALU_DEP_3) | instskip(SKIP_1) | instid1(VALU_DEP_3)
	v_dual_fmamk_f32 v53, v46, 0x3dbcf732, v205 :: v_dual_add_f32 v48, v59, v48
	v_fmamk_f32 v59, v46, 0xbf59a7d5, v163
	v_dual_fmamk_f32 v58, v36, 0xbf7ba420, v141 :: v_dual_add_f32 v49, v50, v49
	v_fmamk_f32 v50, v44, 0x3f3d2fb0, v55
	v_fmamk_f32 v55, v46, 0xbf1a4643, v195
	s_delay_alu instid0(VALU_DEP_2) | instskip(NEXT) | instid1(VALU_DEP_1)
	v_add_f32_e32 v50, v50, v49
	v_dual_add_f32 v49, v174, v48 :: v_dual_add_f32 v48, v51, v50
	v_fmamk_f32 v51, v34, 0x3f6eb680, v198
	s_delay_alu instid0(VALU_DEP_1) | instskip(NEXT) | instid1(VALU_DEP_1)
	v_dual_add_f32 v51, v51, v159 :: v_dual_add_f32 v50, v120, v160
	v_dual_add_f32 v51, v52, v51 :: v_dual_add_f32 v50, v121, v50
	v_fmamk_f32 v52, v38, 0x3f3d2fb0, v199
	s_delay_alu instid0(VALU_DEP_1) | instskip(SKIP_1) | instid1(VALU_DEP_1)
	v_dual_add_f32 v50, v165, v50 :: v_dual_add_f32 v51, v52, v51
	v_fmamk_f32 v52, v40, 0xbf1a4643, v200
	v_dual_add_f32 v50, v193, v50 :: v_dual_add_f32 v51, v52, v51
	v_fmamk_f32 v52, v42, 0x3ee437d1, v201
	s_delay_alu instid0(VALU_DEP_2) | instskip(NEXT) | instid1(VALU_DEP_2)
	v_add_f32_e32 v50, v196, v50
	v_add_f32_e32 v51, v52, v51
	v_fmamk_f32 v52, v44, 0xbe8c1d8e, v202
	s_delay_alu instid0(VALU_DEP_3) | instskip(NEXT) | instid1(VALU_DEP_2)
	v_add_f32_e32 v50, v197, v50
	v_add_f32_e32 v52, v52, v51
	s_delay_alu instid0(VALU_DEP_1) | instskip(SKIP_1) | instid1(VALU_DEP_1)
	v_dual_add_f32 v51, v204, v50 :: v_dual_add_f32 v50, v53, v52
	v_dual_fmamk_f32 v53, v34, 0xbf59a7d5, v184 :: v_dual_add_f32 v52, v183, v158
	v_dual_add_f32 v53, v53, v157 :: v_dual_add_f32 v52, v168, v52
	s_delay_alu instid0(VALU_DEP_1) | instskip(SKIP_1) | instid1(VALU_DEP_1)
	v_add_f32_e32 v53, v54, v53
	v_fmamk_f32 v54, v38, 0x3ee437d1, v186
	v_dual_add_f32 v52, v185, v52 :: v_dual_add_f32 v53, v54, v53
	v_fmamk_f32 v54, v40, 0xbf7ba420, v188
	s_delay_alu instid0(VALU_DEP_1) | instskip(SKIP_1) | instid1(VALU_DEP_1)
	v_dual_add_f32 v52, v187, v52 :: v_dual_add_f32 v53, v54, v53
	v_fmamk_f32 v54, v42, 0x3dbcf732, v190
	v_dual_add_f32 v52, v189, v52 :: v_dual_add_f32 v53, v54, v53
	v_fmamk_f32 v54, v44, 0x3f6eb680, v192
	s_delay_alu instid0(VALU_DEP_2) | instskip(NEXT) | instid1(VALU_DEP_2)
	v_add_f32_e32 v52, v191, v52
	v_add_f32_e32 v54, v54, v53
	s_delay_alu instid0(VALU_DEP_1) | instskip(SKIP_1) | instid1(VALU_DEP_1)
	v_dual_add_f32 v53, v194, v52 :: v_dual_add_f32 v52, v55, v54
	v_dual_fmamk_f32 v55, v34, 0xbe8c1d8e, v170 :: v_dual_add_f32 v54, v149, v156
	v_dual_add_f32 v55, v55, v155 :: v_dual_add_f32 v54, v164, v54
	s_delay_alu instid0(VALU_DEP_1) | instskip(NEXT) | instid1(VALU_DEP_1)
	v_dual_add_f32 v55, v56, v55 :: v_dual_fmamk_f32 v56, v38, 0xbf59a7d5, v177
	v_dual_add_f32 v54, v167, v54 :: v_dual_add_f32 v55, v56, v55
	v_fmamk_f32 v56, v40, 0x3dbcf732, v178
	s_delay_alu instid0(VALU_DEP_1) | instskip(SKIP_1) | instid1(VALU_DEP_1)
	v_dual_add_f32 v54, v169, v54 :: v_dual_add_f32 v55, v56, v55
	v_fmamk_f32 v56, v42, 0x3f3d2fb0, v179
	v_dual_add_f32 v54, v171, v54 :: v_dual_add_f32 v55, v56, v55
	v_fmamk_f32 v56, v44, 0xbf7ba420, v180
	s_delay_alu instid0(VALU_DEP_2) | instskip(NEXT) | instid1(VALU_DEP_1)
	v_add_f32_e32 v54, v175, v54
	v_dual_add_f32 v56, v56, v55 :: v_dual_add_f32 v55, v181, v54
	s_delay_alu instid0(VALU_DEP_1) | instskip(SKIP_1) | instid1(VALU_DEP_1)
	v_dual_add_f32 v54, v57, v56 :: v_dual_fmamk_f32 v57, v34, 0xbf1a4643, v140
	v_add_f32_e32 v56, v137, v154
	v_dual_add_f32 v57, v57, v153 :: v_dual_add_f32 v56, v138, v56
	s_delay_alu instid0(VALU_DEP_1) | instskip(SKIP_1) | instid1(VALU_DEP_1)
	v_add_f32_e32 v57, v58, v57
	v_fmamk_f32 v58, v38, 0xbe8c1d8e, v143
	v_dual_add_f32 v56, v139, v56 :: v_dual_add_f32 v57, v58, v57
	v_fmamk_f32 v58, v40, 0x3f3d2fb0, v145
	s_delay_alu instid0(VALU_DEP_2) | instskip(NEXT) | instid1(VALU_DEP_2)
	v_add_f32_e32 v56, v142, v56
	v_add_f32_e32 v57, v58, v57
	v_fmamk_f32 v58, v42, 0x3f6eb680, v147
	s_delay_alu instid0(VALU_DEP_1) | instskip(SKIP_1) | instid1(VALU_DEP_2)
	v_dual_add_f32 v56, v144, v56 :: v_dual_add_f32 v57, v58, v57
	v_fmamk_f32 v58, v44, 0x3dbcf732, v148
	v_add_f32_e32 v56, v146, v56
	s_delay_alu instid0(VALU_DEP_2) | instskip(NEXT) | instid1(VALU_DEP_1)
	v_add_f32_e32 v58, v58, v57
	v_dual_add_f32 v57, v150, v56 :: v_dual_add_f32 v56, v59, v58
	v_dual_fmamk_f32 v59, v34, 0xbf7ba420, v126 :: v_dual_add_f32 v58, v123, v152
	v_fma_f32 v34, 0xbf1a4643, v37, -v63
	s_delay_alu instid0(VALU_DEP_2) | instskip(NEXT) | instid1(VALU_DEP_2)
	v_dual_add_f32 v59, v59, v151 :: v_dual_add_f32 v58, v124, v58
	v_add_f32_e32 v33, v34, v33
	v_fma_f32 v34, 0xbf7ba420, v39, -v106
	s_delay_alu instid0(VALU_DEP_3) | instskip(NEXT) | instid1(VALU_DEP_2)
	v_dual_add_f32 v59, v60, v59 :: v_dual_fmamk_f32 v60, v38, 0x3f6eb680, v130
	v_dual_add_f32 v58, v125, v58 :: v_dual_add_f32 v33, v34, v33
	v_fma_f32 v34, 0xbf59a7d5, v41, -v108
	s_delay_alu instid0(VALU_DEP_3) | instskip(SKIP_1) | instid1(VALU_DEP_3)
	v_add_f32_e32 v59, v60, v59
	v_fmamk_f32 v60, v40, 0x3ee437d1, v132
	v_dual_add_f32 v58, v127, v58 :: v_dual_add_f32 v33, v34, v33
	v_fma_f32 v34, 0xbe8c1d8e, v43, -v110
	s_delay_alu instid0(VALU_DEP_3) | instskip(NEXT) | instid1(VALU_DEP_2)
	v_dual_add_f32 v59, v60, v59 :: v_dual_fmamk_f32 v60, v42, 0xbf59a7d5, v133
	v_dual_add_f32 v58, v129, v58 :: v_dual_add_f32 v33, v34, v33
	v_fma_f32 v34, 0x3ee437d1, v45, -v112
	s_delay_alu instid0(VALU_DEP_3) | instskip(SKIP_1) | instid1(VALU_DEP_3)
	v_add_f32_e32 v59, v60, v59
	v_fmamk_f32 v60, v44, 0xbf1a4643, v134
	v_dual_add_f32 v58, v131, v58 :: v_dual_add_f32 v33, v34, v33
	v_fma_f32 v34, 0x3f6eb680, v47, -v117
	s_delay_alu instid0(VALU_DEP_2) | instskip(NEXT) | instid1(VALU_DEP_2)
	v_dual_add_f32 v60, v60, v59 :: v_dual_add_f32 v59, v135, v58
	v_dual_add_f32 v33, v34, v33 :: v_dual_add_nc_u32 v34, 0x400, v122
	s_delay_alu instid0(VALU_DEP_2)
	v_add_f32_e32 v58, v61, v60
	ds_store_2addr_b64 v122, v[50:51], v[48:49] offset0:144 offset1:160
	ds_store_2addr_b64 v122, v[54:55], v[52:53] offset0:176 offset1:192
	;; [unrolled: 1-line block ×4, first 2 shown]
.LBB0_5:
	s_or_b32 exec_lo, exec_lo, s6
	s_add_nc_u64 s[4:5], s[4:5], 0x880
	global_wb scope:SCOPE_SE
	s_wait_dscnt 0x0
	s_barrier_signal -1
	s_barrier_wait -1
	global_inv scope:SCOPE_SE
	s_clause 0xf
	global_load_b64 v[36:37], v[99:100], off offset:2176
	global_load_b64 v[38:39], v104, s[4:5] offset:136
	global_load_b64 v[60:61], v104, s[4:5] offset:272
	global_load_b64 v[62:63], v104, s[4:5] offset:408
	global_load_b64 v[99:100], v104, s[4:5] offset:544
	global_load_b64 v[106:107], v104, s[4:5] offset:680
	global_load_b64 v[108:109], v104, s[4:5] offset:816
	global_load_b64 v[110:111], v104, s[4:5] offset:952
	global_load_b64 v[112:113], v104, s[4:5] offset:1088
	global_load_b64 v[114:115], v104, s[4:5] offset:1224
	global_load_b64 v[116:117], v104, s[4:5] offset:1360
	global_load_b64 v[118:119], v104, s[4:5] offset:1496
	global_load_b64 v[120:121], v104, s[4:5] offset:1632
	global_load_b64 v[122:123], v104, s[4:5] offset:1768
	global_load_b64 v[124:125], v104, s[4:5] offset:1904
	global_load_b64 v[126:127], v104, s[4:5] offset:2040
	ds_load_2addr_b64 v[32:35], v102 offset1:17
	s_wait_loadcnt_dscnt 0xe00
	v_dual_mul_f32 v41, v33, v37 :: v_dual_mul_f32 v42, v35, v39
	v_dual_mul_f32 v40, v32, v37 :: v_dual_mul_f32 v37, v34, v39
	s_delay_alu instid0(VALU_DEP_2) | instskip(NEXT) | instid1(VALU_DEP_2)
	v_fma_f32 v39, v32, v36, -v41
	v_dual_fmac_f32 v40, v33, v36 :: v_dual_fmac_f32 v37, v35, v38
	s_delay_alu instid0(VALU_DEP_4)
	v_fma_f32 v36, v34, v38, -v42
	ds_store_2addr_b64 v102, v[39:40], v[36:37] offset1:17
	ds_load_2addr_b64 v[32:35], v102 offset0:34 offset1:51
	ds_load_2addr_b64 v[36:39], v102 offset0:68 offset1:85
	;; [unrolled: 1-line block ×7, first 2 shown]
	s_wait_loadcnt_dscnt 0xc06
	v_dual_mul_f32 v104, v33, v61 :: v_dual_mul_f32 v129, v35, v63
	v_dual_mul_f32 v128, v32, v61 :: v_dual_mul_f32 v61, v34, v63
	s_wait_loadcnt_dscnt 0xa05
	v_dual_mul_f32 v130, v37, v100 :: v_dual_mul_f32 v131, v39, v107
	v_dual_mul_f32 v63, v36, v100 :: v_dual_mul_f32 v100, v38, v107
	s_wait_loadcnt_dscnt 0x804
	v_dual_mul_f32 v132, v41, v109 :: v_dual_mul_f32 v133, v43, v111
	v_dual_mul_f32 v107, v40, v109 :: v_dual_fmac_f32 v128, v33, v60
	s_wait_loadcnt_dscnt 0x703
	v_dual_mul_f32 v109, v42, v111 :: v_dual_mul_f32 v134, v45, v113
	v_dual_mul_f32 v111, v44, v113 :: v_dual_fmac_f32 v100, v39, v106
	s_wait_loadcnt_dscnt 0x502
	v_dual_mul_f32 v135, v47, v115 :: v_dual_mul_f32 v136, v49, v117
	s_wait_loadcnt_dscnt 0x301
	v_dual_mul_f32 v113, v46, v115 :: v_dual_mul_f32 v138, v53, v121
	v_mul_f32_e32 v115, v48, v117
	s_wait_loadcnt_dscnt 0x100
	v_dual_mul_f32 v137, v51, v119 :: v_dual_mul_f32 v140, v57, v125
	v_mul_f32_e32 v117, v50, v119
	v_mul_f32_e32 v119, v52, v121
	;; [unrolled: 1-line block ×5, first 2 shown]
	s_wait_loadcnt 0x0
	v_mul_f32_e32 v141, v59, v127
	v_mul_f32_e32 v125, v58, v127
	v_fma_f32 v127, v32, v60, -v104
	v_fma_f32 v60, v34, v62, -v129
	v_fmac_f32_e32 v61, v35, v62
	v_fma_f32 v62, v36, v99, -v130
	v_fmac_f32_e32 v63, v37, v99
	v_fma_f32 v99, v38, v106, -v131
	v_fma_f32 v106, v40, v108, -v132
	v_fmac_f32_e32 v107, v41, v108
	v_fma_f32 v108, v42, v110, -v133
	v_fmac_f32_e32 v109, v43, v110
	;; [unrolled: 2-line block ×10, first 2 shown]
	ds_store_2addr_b64 v102, v[127:128], v[60:61] offset0:34 offset1:51
	ds_store_2addr_b64 v102, v[62:63], v[99:100] offset0:68 offset1:85
	;; [unrolled: 1-line block ×7, first 2 shown]
	global_wb scope:SCOPE_SE
	s_wait_dscnt 0x0
	s_barrier_signal -1
	s_barrier_wait -1
	global_inv scope:SCOPE_SE
	ds_load_2addr_b64 v[32:35], v102 offset1:17
	ds_load_2addr_b64 v[36:39], v102 offset0:136 offset1:153
	ds_load_2addr_b64 v[40:43], v102 offset0:68 offset1:85
	;; [unrolled: 1-line block ×7, first 2 shown]
	global_wb scope:SCOPE_SE
	s_wait_dscnt 0x0
	s_barrier_signal -1
	s_barrier_wait -1
	global_inv scope:SCOPE_SE
	v_sub_f32_e32 v36, v32, v36
	v_sub_f32_e32 v38, v34, v38
	;; [unrolled: 1-line block ×8, first 2 shown]
	v_fma_f32 v32, v32, 2.0, -v36
	v_fma_f32 v40, v40, 2.0, -v44
	;; [unrolled: 1-line block ×8, first 2 shown]
	v_sub_f32_e32 v40, v32, v40
	v_sub_f32_e32 v56, v48, v56
	;; [unrolled: 1-line block ×3, first 2 shown]
	s_delay_alu instid0(VALU_DEP_4) | instskip(NEXT) | instid1(VALU_DEP_4)
	v_sub_f32_e32 v58, v50, v58
	v_fma_f32 v32, v32, 2.0, -v40
	s_delay_alu instid0(VALU_DEP_4) | instskip(SKIP_3) | instid1(VALU_DEP_4)
	v_fma_f32 v48, v48, 2.0, -v56
	v_sub_f32_e32 v47, v43, v47
	v_fma_f32 v34, v34, 2.0, -v42
	v_fma_f32 v50, v50, 2.0, -v58
	v_dual_sub_f32 v63, v59, v63 :: v_dual_sub_f32 v48, v32, v48
	s_delay_alu instid0(VALU_DEP_4) | instskip(SKIP_1) | instid1(VALU_DEP_3)
	v_fma_f32 v43, v43, 2.0, -v47
	v_add_f32_e32 v47, v38, v47
	v_fma_f32 v59, v59, 2.0, -v63
	v_add_f32_e32 v63, v54, v63
	v_sub_f32_e32 v37, v33, v37
	s_delay_alu instid0(VALU_DEP_4) | instskip(SKIP_1) | instid1(VALU_DEP_4)
	v_fma_f32 v38, v38, 2.0, -v47
	v_fma_f32 v32, v32, 2.0, -v48
	v_fmamk_f32 v104, v63, 0x3f3504f3, v47
	s_delay_alu instid0(VALU_DEP_4) | instskip(SKIP_3) | instid1(VALU_DEP_4)
	v_sub_f32_e32 v44, v37, v44
	v_fma_f32 v33, v33, 2.0, -v37
	v_fma_f32 v54, v54, 2.0, -v63
	v_sub_f32_e32 v45, v41, v45
	v_fma_f32 v37, v37, 2.0, -v44
	v_sub_f32_e32 v39, v35, v39
	s_delay_alu instid0(VALU_DEP_3) | instskip(NEXT) | instid1(VALU_DEP_2)
	v_fma_f32 v41, v41, 2.0, -v45
	v_fma_f32 v35, v35, 2.0, -v39
	s_delay_alu instid0(VALU_DEP_1) | instskip(NEXT) | instid1(VALU_DEP_1)
	v_sub_f32_e32 v43, v35, v43
	v_dual_sub_f32 v53, v49, v53 :: v_dual_sub_f32 v112, v43, v58
	s_delay_alu instid0(VALU_DEP_1) | instskip(SKIP_2) | instid1(VALU_DEP_3)
	v_sub_f32_e32 v60, v53, v60
	v_fma_f32 v49, v49, 2.0, -v53
	v_fma_f32 v35, v35, 2.0, -v43
	;; [unrolled: 1-line block ×3, first 2 shown]
	v_fmamk_f32 v100, v60, 0x3f3504f3, v44
	s_delay_alu instid0(VALU_DEP_2) | instskip(SKIP_1) | instid1(VALU_DEP_2)
	v_dual_fmamk_f32 v108, v53, 0xbf3504f3, v37 :: v_dual_sub_f32 v55, v51, v55
	v_sub_f32_e32 v46, v39, v46
	v_dual_sub_f32 v62, v55, v62 :: v_dual_sub_f32 v61, v57, v61
	s_delay_alu instid0(VALU_DEP_2) | instskip(NEXT) | instid1(VALU_DEP_2)
	v_fma_f32 v39, v39, 2.0, -v46
	v_fmac_f32_e32 v104, 0x3f3504f3, v62
	s_delay_alu instid0(VALU_DEP_3) | instskip(SKIP_2) | instid1(VALU_DEP_2)
	v_fma_f32 v57, v57, 2.0, -v61
	v_dual_add_f32 v61, v52, v61 :: v_dual_fmamk_f32 v106, v62, 0x3f3504f3, v46
	v_add_f32_e32 v45, v36, v45
	v_fma_f32 v52, v52, 2.0, -v61
	s_delay_alu instid0(VALU_DEP_3) | instskip(NEXT) | instid1(VALU_DEP_3)
	v_fmac_f32_e32 v106, 0xbf3504f3, v63
	v_fmamk_f32 v99, v61, 0x3f3504f3, v45
	v_fma_f32 v36, v36, 2.0, -v45
	s_delay_alu instid0(VALU_DEP_4)
	v_fmac_f32_e32 v108, 0xbf3504f3, v52
	v_fma_f32 v51, v51, 2.0, -v55
	v_fma_f32 v55, v55, 2.0, -v62
	v_fmac_f32_e32 v99, 0x3f3504f3, v60
	v_fmamk_f32 v60, v54, 0xbf3504f3, v38
	v_fmamk_f32 v107, v52, 0xbf3504f3, v36
	v_fma_f32 v46, v46, 2.0, -v106
	v_fma_f32 v116, v37, 2.0, -v108
	s_delay_alu instid0(VALU_DEP_4)
	v_fmac_f32_e32 v60, 0x3f3504f3, v55
	v_fmac_f32_e32 v100, 0xbf3504f3, v61
	v_fmac_f32_e32 v107, 0x3f3504f3, v53
	v_sub_f32_e32 v59, v51, v59
	v_fmamk_f32 v61, v55, 0xbf3504f3, v39
	v_fma_f32 v117, v38, 2.0, -v60
	v_fma_f32 v114, v44, 2.0, -v100
	v_sub_f32_e32 v44, v34, v50
	v_fma_f32 v115, v36, 2.0, -v107
	v_fmac_f32_e32 v61, 0xbf3504f3, v54
	v_dual_fmamk_f32 v54, v60, 0x3ec3ef15, v107 :: v_dual_add_f32 v111, v42, v59
	s_delay_alu instid0(VALU_DEP_4) | instskip(NEXT) | instid1(VALU_DEP_4)
	v_fma_f32 v34, v34, 2.0, -v44
	v_fmamk_f32 v38, v117, 0xbf6c835e, v115
	v_fma_f32 v51, v51, 2.0, -v59
	v_fma_f32 v118, v39, 2.0, -v61
	;; [unrolled: 1-line block ×3, first 2 shown]
	v_sub_f32_e32 v36, v32, v34
	v_fma_f32 v113, v45, 2.0, -v99
	v_dual_sub_f32 v57, v49, v57 :: v_dual_fmamk_f32 v58, v104, 0x3f6c835e, v99
	v_fmamk_f32 v59, v106, 0x3f6c835e, v100
	v_fmamk_f32 v55, v61, 0x3ec3ef15, v108
	;; [unrolled: 1-line block ×3, first 2 shown]
	s_delay_alu instid0(VALU_DEP_4) | instskip(NEXT) | instid1(VALU_DEP_4)
	v_dual_add_f32 v109, v40, v57 :: v_dual_fmac_f32 v58, 0x3ec3ef15, v106
	v_fmac_f32_e32 v59, 0xbec3ef15, v104
	v_fmac_f32_e32 v54, 0x3f6c835e, v61
	;; [unrolled: 1-line block ×3, first 2 shown]
	s_delay_alu instid0(VALU_DEP_4) | instskip(SKIP_3) | instid1(VALU_DEP_4)
	v_fma_f32 v62, v40, 2.0, -v109
	v_dual_sub_f32 v41, v33, v41 :: v_dual_fmac_f32 v38, 0x3ec3ef15, v118
	v_fmac_f32_e32 v39, 0xbec3ef15, v117
	v_fma_f32 v32, v32, 2.0, -v36
	v_fmamk_f32 v40, v50, 0xbf3504f3, v62
	s_delay_alu instid0(VALU_DEP_4)
	v_sub_f32_e32 v110, v41, v56
	v_fmamk_f32 v56, v111, 0x3f3504f3, v109
	v_fma_f32 v47, v47, 2.0, -v104
	v_fma_f32 v33, v33, 2.0, -v41
	;; [unrolled: 1-line block ×4, first 2 shown]
	v_fmac_f32_e32 v56, 0x3f3504f3, v112
	v_fmamk_f32 v42, v47, 0xbec3ef15, v113
	v_fma_f32 v49, v49, 2.0, -v57
	v_sub_f32_e32 v45, v35, v51
	v_fmamk_f32 v57, v112, 0x3f3504f3, v110
	s_delay_alu instid0(VALU_DEP_4) | instskip(NEXT) | instid1(VALU_DEP_3)
	v_fmac_f32_e32 v42, 0x3f6c835e, v46
	v_add_f32_e32 v52, v48, v45
	v_fma_f32 v51, v43, 2.0, -v112
	v_sub_f32_e32 v49, v33, v49
	v_fma_f32 v35, v35, 2.0, -v45
	v_fmamk_f32 v43, v46, 0xbec3ef15, v114
	v_fmac_f32_e32 v57, 0xbf3504f3, v111
	v_fmac_f32_e32 v40, 0x3f3504f3, v51
	v_fma_f32 v33, v33, 2.0, -v49
	v_fmamk_f32 v41, v51, 0xbf3504f3, v63
	v_sub_f32_e32 v53, v49, v44
	v_fmac_f32_e32 v43, 0xbf6c835e, v47
	v_fma_f32 v48, v48, 2.0, -v52
	v_sub_f32_e32 v37, v33, v35
	v_fmac_f32_e32 v41, 0xbf3504f3, v50
	v_fma_f32 v49, v49, 2.0, -v53
	v_fma_f32 v44, v109, 2.0, -v56
	;; [unrolled: 1-line block ×13, first 2 shown]
	ds_store_b128 v105, v[52:55] offset:96
	ds_store_b128 v105, v[56:59] offset:112
	;; [unrolled: 1-line block ×6, first 2 shown]
	ds_store_b128 v105, v[32:35]
	ds_store_b128 v105, v[60:63] offset:16
	global_wb scope:SCOPE_SE
	s_wait_dscnt 0x0
	s_barrier_signal -1
	s_barrier_wait -1
	global_inv scope:SCOPE_SE
	s_and_saveexec_b32 s4, vcc_lo
	s_cbranch_execz .LBB0_7
; %bb.6:
	ds_load_2addr_b64 v[32:35], v102 offset1:16
	ds_load_2addr_b64 v[60:63], v102 offset0:32 offset1:48
	ds_load_2addr_b64 v[48:51], v102 offset0:64 offset1:80
	;; [unrolled: 1-line block ×7, first 2 shown]
	ds_load_b64 v[97:98], v102 offset:2048
.LBB0_7:
	s_wait_alu 0xfffe
	s_or_b32 exec_lo, exec_lo, s4
	s_and_saveexec_b32 s4, vcc_lo
	s_cbranch_execz .LBB0_9
; %bb.8:
	s_wait_dscnt 0x0
	v_dual_mul_f32 v100, v21, v35 :: v_dual_mul_f32 v99, v31, v98
	v_dual_mul_f32 v104, v31, v97 :: v_dual_mul_f32 v21, v21, v34
	s_delay_alu instid0(VALU_DEP_2) | instskip(NEXT) | instid1(VALU_DEP_3)
	v_dual_mul_f32 v31, v29, v59 :: v_dual_fmac_f32 v100, v20, v34
	v_fmac_f32_e32 v99, v30, v97
	v_mul_f32_e32 v34, v23, v61
	s_delay_alu instid0(VALU_DEP_4) | instskip(SKIP_2) | instid1(VALU_DEP_4)
	v_fma_f32 v97, v20, v35, -v21
	v_fma_f32 v30, v30, v98, -v104
	v_mul_f32_e32 v35, v29, v58
	v_dual_sub_f32 v21, v100, v99 :: v_dual_fmac_f32 v34, v22, v60
	v_fmac_f32_e32 v31, v28, v58
	v_dual_mul_f32 v23, v23, v60 :: v_dual_mul_f32 v58, v13, v63
	s_delay_alu instid0(VALU_DEP_3) | instskip(NEXT) | instid1(VALU_DEP_3)
	v_mul_f32_e32 v120, 0xbf65296c, v21
	v_dual_mul_f32 v29, v27, v57 :: v_dual_sub_f32 v20, v34, v31
	v_add_f32_e32 v98, v30, v97
	s_delay_alu instid0(VALU_DEP_4) | instskip(SKIP_1) | instid1(VALU_DEP_4)
	v_fmac_f32_e32 v58, v12, v62
	v_fma_f32 v28, v28, v59, -v35
	v_fmac_f32_e32 v29, v26, v56
	v_fma_f32 v59, v22, v61, -v23
	v_dual_fmamk_f32 v60, v98, 0x3ee437d1, v120 :: v_dual_mul_f32 v23, v27, v56
	s_delay_alu instid0(VALU_DEP_3) | instskip(SKIP_2) | instid1(VALU_DEP_4)
	v_dual_mul_f32 v13, v13, v62 :: v_dual_sub_f32 v22, v58, v29
	v_mul_f32_e32 v27, v25, v55
	v_mul_f32_e32 v121, 0xbf4c4adb, v20
	v_fma_f32 v26, v26, v57, -v23
	s_delay_alu instid0(VALU_DEP_4) | instskip(SKIP_3) | instid1(VALU_DEP_4)
	v_dual_mul_f32 v57, v15, v49 :: v_dual_mul_f32 v122, 0x3e3c28d5, v22
	v_mul_f32_e32 v25, v25, v54
	v_mul_f32_e32 v15, v15, v48
	v_add_f32_e32 v61, v28, v59
	v_dual_fmac_f32 v57, v14, v48 :: v_dual_mul_f32 v48, v19, v53
	v_dual_fmac_f32 v27, v24, v54 :: v_dual_mul_f32 v54, v9, v51
	v_fma_f32 v56, v12, v63, -v13
	v_add_f32_e32 v12, v33, v60
	s_delay_alu instid0(VALU_DEP_4) | instskip(NEXT) | instid1(VALU_DEP_4)
	v_dual_fmac_f32 v48, v18, v52 :: v_dual_fmamk_f32 v13, v61, 0xbf1a4643, v121
	v_fmac_f32_e32 v54, v8, v50
	s_delay_alu instid0(VALU_DEP_4) | instskip(SKIP_1) | instid1(VALU_DEP_4)
	v_dual_add_f32 v62, v26, v56 :: v_dual_sub_f32 v23, v57, v27
	v_fma_f32 v35, v24, v55, -v25
	v_add_f32_e32 v12, v13, v12
	v_dual_sub_f32 v108, v97, v30 :: v_dual_sub_f32 v111, v59, v28
	s_delay_alu instid0(VALU_DEP_4) | instskip(SKIP_4) | instid1(VALU_DEP_4)
	v_mul_f32_e32 v124, 0x3f763a35, v23
	v_fma_f32 v55, v14, v49, -v15
	v_mul_f32_e32 v14, v19, v52
	v_dual_mul_f32 v52, v11, v45 :: v_dual_mul_f32 v9, v9, v50
	v_fmamk_f32 v13, v62, 0xbf7ba420, v122
	v_add_f32_e32 v109, v35, v55
	s_delay_alu instid0(VALU_DEP_4) | instskip(NEXT) | instid1(VALU_DEP_4)
	v_fma_f32 v49, v18, v53, -v14
	v_fmac_f32_e32 v52, v10, v44
	v_fma_f32 v51, v8, v51, -v9
	v_add_f32_e32 v8, v13, v12
	v_sub_f32_e32 v19, v54, v48
	v_fmamk_f32 v9, v109, 0xbe8c1d8e, v124
	v_dual_mul_f32 v12, v17, v42 :: v_dual_mul_f32 v11, v11, v44
	v_add_f32_e32 v110, v49, v51
	s_delay_alu instid0(VALU_DEP_4) | instskip(NEXT) | instid1(VALU_DEP_4)
	v_dual_mul_f32 v44, v7, v41 :: v_dual_mul_f32 v123, 0x3f2c7751, v19
	v_add_f32_e32 v8, v9, v8
	v_mul_f32_e32 v50, v17, v43
	v_mul_f32_e32 v53, v1, v47
	v_fma_f32 v43, v16, v43, -v12
	v_fmamk_f32 v9, v110, 0x3f3d2fb0, v123
	v_fma_f32 v60, v10, v45, -v11
	v_fmac_f32_e32 v50, v16, v42
	v_dual_fmac_f32 v53, v0, v46 :: v_dual_fmac_f32 v44, v6, v40
	v_mul_f32_e32 v7, v7, v40
	s_delay_alu instid0(VALU_DEP_4) | instskip(NEXT) | instid1(VALU_DEP_4)
	v_dual_mul_f32 v1, v1, v46 :: v_dual_add_f32 v104, v43, v60
	v_sub_f32_e32 v18, v52, v50
	s_delay_alu instid0(VALU_DEP_4) | instskip(NEXT) | instid1(VALU_DEP_4)
	v_sub_f32_e32 v24, v53, v44
	v_fma_f32 v46, v6, v41, -v7
	s_delay_alu instid0(VALU_DEP_4) | instskip(SKIP_2) | instid1(VALU_DEP_3)
	v_fma_f32 v47, v0, v47, -v1
	v_dual_add_f32 v40, v99, v100 :: v_dual_mul_f32 v105, v5, v39
	v_dual_mul_f32 v125, 0xbeb8f4ab, v18 :: v_dual_add_f32 v0, v9, v8
	v_dual_mul_f32 v126, 0xbf7ee86f, v24 :: v_dual_add_f32 v63, v46, v47
	v_dual_mul_f32 v131, 0xbf65296c, v108 :: v_dual_mul_f32 v106, v3, v37
	s_delay_alu instid0(VALU_DEP_3) | instskip(SKIP_2) | instid1(VALU_DEP_3)
	v_fmamk_f32 v1, v104, 0x3f6eb680, v125
	v_dual_add_f32 v41, v31, v34 :: v_dual_mul_f32 v134, 0xbf4c4adb, v111
	v_fmac_f32_e32 v105, v4, v38
	v_dual_sub_f32 v115, v55, v35 :: v_dual_add_f32 v0, v1, v0
	v_fmamk_f32 v1, v63, 0x3dbcf732, v126
	s_delay_alu instid0(VALU_DEP_4) | instskip(SKIP_2) | instid1(VALU_DEP_4)
	v_fma_f32 v6, 0xbf1a4643, v41, -v134
	v_dual_mul_f32 v5, v5, v38 :: v_dual_add_f32 v38, v27, v57
	v_dual_mul_f32 v3, v3, v36 :: v_dual_mul_f32 v144, 0xbf7ee86f, v21
	v_add_f32_e32 v0, v1, v0
	v_fma_f32 v1, 0x3ee437d1, v40, -v131
	v_dual_fmac_f32 v106, v2, v36 :: v_dual_sub_f32 v107, v51, v49
	v_add_f32_e32 v36, v48, v54
	s_delay_alu instid0(VALU_DEP_3) | instskip(NEXT) | instid1(VALU_DEP_3)
	v_dual_mul_f32 v128, 0x3f763a35, v115 :: v_dual_add_f32 v1, v32, v1
	v_dual_sub_f32 v112, v56, v26 :: v_dual_sub_f32 v25, v106, v105
	v_add_f32_e32 v42, v29, v58
	v_fma_f32 v114, v4, v39, -v5
	s_delay_alu instid0(VALU_DEP_4) | instskip(NEXT) | instid1(VALU_DEP_4)
	v_add_f32_e32 v1, v6, v1
	v_mul_f32_e32 v127, 0x3e3c28d5, v112
	v_fma_f32 v4, 0xbe8c1d8e, v38, -v128
	v_mul_f32_e32 v129, 0x3f2c7751, v107
	v_fma_f32 v117, v2, v37, -v3
	v_sub_f32_e32 v116, v47, v46
	v_fma_f32 v6, 0xbf7ba420, v42, -v127
	v_mul_f32_e32 v146, 0xbe3c28d5, v20
	v_fma_f32 v2, 0x3f3d2fb0, v36, -v129
	s_delay_alu instid0(VALU_DEP_4) | instskip(NEXT) | instid1(VALU_DEP_4)
	v_dual_sub_f32 v113, v60, v43 :: v_dual_mul_f32 v132, 0xbf7ee86f, v116
	v_add_f32_e32 v1, v6, v1
	v_add_f32_e32 v119, v114, v117
	v_mul_f32_e32 v139, 0x3f763a35, v22
	v_add_f32_e32 v39, v44, v53
	v_dual_add_f32 v37, v50, v52 :: v_dual_mul_f32 v140, 0x3eb8f4ab, v23
	v_dual_add_f32 v1, v4, v1 :: v_dual_fmamk_f32 v4, v61, 0xbf7ba420, v146
	v_sub_f32_e32 v118, v117, v114
	v_dual_add_f32 v45, v105, v106 :: v_dual_mul_f32 v150, 0xbf7ee86f, v108
	s_delay_alu instid0(VALU_DEP_3) | instskip(SKIP_1) | instid1(VALU_DEP_4)
	v_add_f32_e32 v1, v2, v1
	v_fmamk_f32 v2, v98, 0x3dbcf732, v144
	v_mul_f32_e32 v130, 0xbf06c442, v118
	v_mul_f32_e32 v151, 0xbe3c28d5, v111
	;; [unrolled: 1-line block ×4, first 2 shown]
	v_dual_add_f32 v2, v33, v2 :: v_dual_mul_f32 v133, 0xbf06c442, v25
	v_dual_mul_f32 v137, 0xbf06c442, v18 :: v_dual_mul_f32 v148, 0xbf06c442, v113
	s_delay_alu instid0(VALU_DEP_2) | instskip(SKIP_4) | instid1(VALU_DEP_4)
	v_dual_mul_f32 v147, 0x3f4c4adb, v116 :: v_dual_add_f32 v2, v4, v2
	v_fmamk_f32 v4, v62, 0xbe8c1d8e, v139
	v_fma_f32 v6, 0x3dbcf732, v39, -v132
	v_mul_f32_e32 v135, 0xbeb8f4ab, v113
	v_fmamk_f32 v5, v119, 0xbf59a7d5, v133
	v_dual_mul_f32 v17, 0x3f06c442, v20 :: v_dual_add_f32 v2, v4, v2
	v_fma_f32 v4, 0xbf59a7d5, v45, -v130
	s_delay_alu instid0(VALU_DEP_4) | instskip(SKIP_1) | instid1(VALU_DEP_4)
	v_fma_f32 v3, 0x3f6eb680, v37, -v135
	v_fma_f32 v8, 0xbf1a4643, v39, -v147
	v_fmamk_f32 v7, v61, 0xbf59a7d5, v17
	v_mul_f32_e32 v152, 0x3f2c7751, v22
	v_mul_f32_e32 v155, 0xbf763a35, v108
	v_add_f32_e32 v3, v3, v1
	v_add_f32_e32 v1, v5, v0
	v_fma_f32 v5, 0x3dbcf732, v40, -v150
	v_mul_f32_e32 v138, 0x3f4c4adb, v24
	v_mul_f32_e32 v153, 0xbf65296c, v23
	v_add_f32_e32 v0, v6, v3
	v_fma_f32 v6, 0xbf7ba420, v41, -v151
	v_add_f32_e32 v5, v32, v5
	v_fmamk_f32 v3, v109, 0x3f6eb680, v140
	s_delay_alu instid0(VALU_DEP_4) | instskip(NEXT) | instid1(VALU_DEP_3)
	v_dual_mul_f32 v157, 0x3f06c442, v111 :: v_dual_add_f32 v0, v4, v0
	v_dual_mul_f32 v141, 0x3f2c7751, v118 :: v_dual_add_f32 v4, v6, v5
	s_delay_alu instid0(VALU_DEP_3) | instskip(SKIP_3) | instid1(VALU_DEP_4)
	v_dual_add_f32 v2, v3, v2 :: v_dual_fmamk_f32 v3, v110, 0x3ee437d1, v136
	v_fmamk_f32 v6, v98, 0xbe8c1d8e, v16
	v_mul_f32_e32 v154, 0xbe3c28d5, v19
	v_mul_f32_e32 v159, 0x3f2c7751, v112
	v_dual_mul_f32 v161, 0xbf4c4adb, v25 :: v_dual_add_f32 v2, v3, v2
	s_delay_alu instid0(VALU_DEP_4) | instskip(SKIP_3) | instid1(VALU_DEP_4)
	v_dual_fmamk_f32 v3, v104, 0xbf59a7d5, v137 :: v_dual_add_f32 v6, v33, v6
	v_mul_f32_e32 v143, 0x3f763a35, v112
	v_mul_f32_e32 v149, 0xbf65296c, v107
	v_mul_f32_e32 v14, 0xbf4c4adb, v21
	v_add_f32_e32 v2, v3, v2
	v_fmamk_f32 v3, v63, 0xbf1a4643, v138
	v_fma_f32 v5, 0xbe8c1d8e, v42, -v143
	v_mul_f32_e32 v145, 0x3eb8f4ab, v115
	v_mul_f32_e32 v142, 0x3f2c7751, v25
	v_add_f32_e32 v6, v7, v6
	s_delay_alu instid0(VALU_DEP_4) | instskip(NEXT) | instid1(VALU_DEP_4)
	v_dual_add_f32 v2, v3, v2 :: v_dual_add_f32 v3, v5, v4
	v_fma_f32 v4, 0x3f6eb680, v38, -v145
	v_fmamk_f32 v7, v62, 0x3f3d2fb0, v152
	v_mul_f32_e32 v162, 0xbe3c28d5, v107
	v_mul_f32_e32 v163, 0x3f7ee86f, v113
	;; [unrolled: 1-line block ×3, first 2 shown]
	v_add_f32_e32 v3, v4, v3
	v_fma_f32 v4, 0x3ee437d1, v36, -v149
	v_dual_mul_f32 v164, 0xbeb8f4ab, v22 :: v_dual_mul_f32 v165, 0xbeb8f4ab, v116
	v_mul_f32_e32 v166, 0xbf06c442, v23
	v_dual_mul_f32 v168, 0xbf4c4adb, v118 :: v_dual_mul_f32 v169, 0xbf4c4adb, v108
	s_delay_alu instid0(VALU_DEP_4) | instskip(SKIP_4) | instid1(VALU_DEP_3)
	v_add_f32_e32 v3, v4, v3
	v_fma_f32 v4, 0xbf59a7d5, v37, -v148
	v_fmamk_f32 v5, v119, 0x3f3d2fb0, v142
	v_mul_f32_e32 v171, 0x3f763a35, v111
	v_dual_mul_f32 v12, 0xbf06c442, v21 :: v_dual_mul_f32 v183, 0xbf06c442, v108
	v_dual_add_f32 v4, v4, v3 :: v_dual_add_f32 v3, v5, v2
	v_add_f32_e32 v2, v7, v6
	v_fma_f32 v7, 0xbe8c1d8e, v40, -v155
	v_fma_f32 v6, 0x3f3d2fb0, v45, -v141
	s_delay_alu instid0(VALU_DEP_4)
	v_add_f32_e32 v4, v8, v4
	v_fma_f32 v8, 0xbf59a7d5, v41, -v157
	v_fma_f32 v10, 0xbe8c1d8e, v41, -v171
	v_add_f32_e32 v7, v32, v7
	v_fmamk_f32 v5, v109, 0x3ee437d1, v153
	v_mul_f32_e32 v185, 0x3f65296c, v111
	v_mul_f32_e32 v186, 0x3f2c7751, v24
	;; [unrolled: 1-line block ×3, first 2 shown]
	v_dual_mul_f32 v179, 0xbe3c28d5, v116 :: v_dual_mul_f32 v184, 0xbe3c28d5, v18
	v_dual_add_f32 v2, v5, v2 :: v_dual_fmamk_f32 v5, v110, 0xbf7ba420, v154
	v_fma_f32 v187, 0x3ee437d1, v41, -v185
	v_mul_f32_e32 v13, 0x3f65296c, v20
	v_fmamk_f32 v189, v63, 0x3f3d2fb0, v186
	v_mul_f32_e32 v172, 0xbe3c28d5, v24
	v_add_f32_e32 v2, v5, v2
	v_mul_f32_e32 v158, 0xbeb8f4ab, v24
	v_fmamk_f32 v11, v61, 0x3ee437d1, v13
	v_mul_f32_e32 v173, 0xbeb8f4ab, v112
	v_fma_f32 v181, 0xbf7ba420, v39, -v179
	v_mul_f32_e32 v175, 0x3f65296c, v25
	v_fmamk_f32 v9, v63, 0x3f6eb680, v158
	v_mul_f32_e32 v156, 0x3f7ee86f, v18
	v_mul_f32_e32 v176, 0x3f7ee86f, v107
	;; [unrolled: 1-line block ×5, first 2 shown]
	v_fmamk_f32 v5, v104, 0x3dbcf732, v156
	v_mul_f32_e32 v203, 0x3eb8f4ab, v111
	v_mul_f32_e32 v196, 0xbf06c442, v22
	v_dual_mul_f32 v197, 0x3f2c7751, v116 :: v_dual_mul_f32 v198, 0x3f2c7751, v23
	s_delay_alu instid0(VALU_DEP_4)
	v_dual_add_f32 v5, v5, v2 :: v_dual_add_f32 v2, v6, v4
	v_add_f32_e32 v4, v8, v7
	v_fma_f32 v6, 0x3f3d2fb0, v42, -v159
	v_dual_fmamk_f32 v7, v119, 0xbf1a4643, v161 :: v_dual_fmamk_f32 v8, v98, 0xbf1a4643, v14
	v_mul_f32_e32 v160, 0xbf65296c, v115
	v_fma_f32 v205, 0x3f6eb680, v41, -v203
	s_delay_alu instid0(VALU_DEP_4)
	v_add_f32_e32 v4, v6, v4
	v_mul_f32_e32 v182, 0xbeb8f4ab, v19
	v_add_f32_e32 v8, v33, v8
	v_fma_f32 v6, 0x3ee437d1, v38, -v160
	v_fmac_f32_e32 v203, 0x3f6eb680, v41
	v_mul_f32_e32 v193, 0x3eb8f4ab, v20
	v_mul_f32_e32 v199, 0xbf763a35, v118
	v_mul_f32_e32 v190, 0xbeb8f4ab, v107
	v_add_f32_e32 v4, v6, v4
	v_fma_f32 v6, 0xbf7ba420, v36, -v162
	v_fmamk_f32 v195, v61, 0x3f6eb680, v193
	v_fma_f32 v201, 0xbe8c1d8e, v45, -v199
	v_dual_mul_f32 v200, 0x3f65296c, v18 :: v_dual_mul_f32 v209, 0x3f65296c, v113
	s_delay_alu instid0(VALU_DEP_4)
	v_add_f32_e32 v4, v6, v4
	v_fma_f32 v6, 0x3dbcf732, v37, -v163
	v_fma_f32 v16, 0xbe8c1d8e, v98, -v16
	;; [unrolled: 1-line block ×5, first 2 shown]
	v_dual_add_f32 v4, v6, v4 :: v_dual_add_f32 v5, v9, v5
	v_fmamk_f32 v9, v61, 0xbe8c1d8e, v15
	v_fma_f32 v6, 0x3f6eb680, v39, -v165
	v_fma_f32 v146, 0xbf7ba420, v61, -v146
	;; [unrolled: 1-line block ×3, first 2 shown]
	s_delay_alu instid0(VALU_DEP_4)
	v_dual_add_f32 v5, v7, v5 :: v_dual_add_f32 v8, v9, v8
	v_fmamk_f32 v9, v62, 0x3f6eb680, v164
	v_add_f32_e32 v4, v6, v4
	v_fma_f32 v120, 0x3ee437d1, v98, -v120
	v_fma_f32 v140, 0x3f6eb680, v109, -v140
	v_fmac_f32_e32 v143, 0xbe8c1d8e, v42
	v_add_f32_e32 v7, v9, v8
	v_fmamk_f32 v8, v109, 0xbf59a7d5, v166
	v_fma_f32 v9, 0xbf1a4643, v40, -v169
	v_fma_f32 v14, 0xbf1a4643, v98, -v14
	v_dual_add_f32 v120, v33, v120 :: v_dual_fmac_f32 v151, 0xbf7ba420, v41
	s_delay_alu instid0(VALU_DEP_4) | instskip(SKIP_4) | instid1(VALU_DEP_4)
	v_add_f32_e32 v6, v8, v7
	v_fma_f32 v8, 0xbf1a4643, v45, -v168
	v_add_f32_e32 v9, v32, v9
	v_mul_f32_e32 v167, 0x3f7ee86f, v19
	v_dual_fmac_f32 v179, 0xbf7ba420, v39 :: v_dual_fmac_f32 v162, 0xbf7ba420, v36
	v_add_f32_e32 v4, v8, v4
	s_delay_alu instid0(VALU_DEP_4) | instskip(SKIP_4) | instid1(VALU_DEP_4)
	v_add_f32_e32 v8, v10, v9
	v_fmamk_f32 v10, v98, 0xbf59a7d5, v12
	v_fma_f32 v9, 0x3f6eb680, v42, -v173
	v_mul_f32_e32 v204, 0xbf763a35, v24
	v_fma_f32 v12, 0xbf59a7d5, v98, -v12
	v_dual_fmac_f32 v155, 0xbe8c1d8e, v40 :: v_dual_add_f32 v10, v33, v10
	v_fmamk_f32 v7, v110, 0x3dbcf732, v167
	v_fma_f32 v167, 0x3dbcf732, v110, -v167
	v_fma_f32 v136, 0x3ee437d1, v110, -v136
	;; [unrolled: 1-line block ×3, first 2 shown]
	v_add_f32_e32 v10, v11, v10
	v_dual_add_f32 v6, v7, v6 :: v_dual_fmamk_f32 v7, v104, 0x3f3d2fb0, v170
	v_dual_fmamk_f32 v11, v62, 0x3dbcf732, v178 :: v_dual_add_f32 v12, v33, v12
	v_fma_f32 v137, 0xbf59a7d5, v104, -v137
	v_fma_f32 v123, 0x3f3d2fb0, v110, -v123
	s_delay_alu instid0(VALU_DEP_4)
	v_add_f32_e32 v6, v7, v6
	v_fmamk_f32 v7, v63, 0xbf7ba420, v172
	v_fma_f32 v15, 0xbe8c1d8e, v61, -v15
	v_fmac_f32_e32 v128, 0xbe8c1d8e, v38
	v_fmac_f32_e32 v132, 0x3dbcf732, v39
	;; [unrolled: 1-line block ×3, first 2 shown]
	v_dual_add_f32 v6, v7, v6 :: v_dual_add_f32 v7, v9, v8
	v_fmamk_f32 v9, v119, 0x3ee437d1, v175
	v_mul_f32_e32 v174, 0xbf06c442, v115
	v_add_f32_e32 v100, v32, v100
	v_dual_add_f32 v16, v33, v16 :: v_dual_fmac_f32 v157, 0xbf59a7d5, v41
	v_fmac_f32_e32 v160, 0x3ee437d1, v38
	s_delay_alu instid0(VALU_DEP_4) | instskip(NEXT) | instid1(VALU_DEP_4)
	v_fma_f32 v8, 0xbf59a7d5, v38, -v174
	v_add_f32_e32 v34, v34, v100
	s_delay_alu instid0(VALU_DEP_4) | instskip(SKIP_1) | instid1(VALU_DEP_4)
	v_add_f32_e32 v16, v17, v16
	v_dual_add_f32 v144, v33, v144 :: v_dual_fmac_f32 v163, 0x3dbcf732, v37
	v_add_f32_e32 v7, v8, v7
	v_fma_f32 v8, 0x3dbcf732, v36, -v176
	s_delay_alu instid0(VALU_DEP_4) | instskip(SKIP_2) | instid1(VALU_DEP_4)
	v_add_f32_e32 v16, v152, v16
	v_fma_f32 v152, 0x3ee437d1, v109, -v153
	v_dual_add_f32 v153, v32, v155 :: v_dual_add_f32 v34, v58, v34
	v_add_f32_e32 v7, v8, v7
	v_fma_f32 v8, 0x3f3d2fb0, v37, -v177
	s_delay_alu instid0(VALU_DEP_4)
	v_add_f32_e32 v16, v152, v16
	v_fma_f32 v152, 0xbf7ba420, v110, -v154
	v_add_f32_e32 v153, v157, v153
	v_add_f32_e32 v34, v57, v34
	v_dual_add_f32 v8, v8, v7 :: v_dual_add_f32 v7, v9, v6
	v_dual_add_f32 v6, v11, v10 :: v_dual_fmamk_f32 v9, v109, 0xbf1a4643, v180
	v_fma_f32 v11, 0xbf59a7d5, v40, -v183
	s_delay_alu instid0(VALU_DEP_3) | instskip(NEXT) | instid1(VALU_DEP_3)
	v_dual_add_f32 v8, v181, v8 :: v_dual_mul_f32 v181, 0x3f65296c, v118
	v_dual_fmac_f32 v183, 0xbf59a7d5, v40 :: v_dual_add_f32 v6, v9, v6
	v_fmamk_f32 v9, v110, 0x3f6eb680, v182
	s_delay_alu instid0(VALU_DEP_4) | instskip(NEXT) | instid1(VALU_DEP_4)
	v_add_f32_e32 v11, v32, v11
	v_fma_f32 v10, 0x3ee437d1, v45, -v181
	v_dual_fmac_f32 v171, 0xbe8c1d8e, v41 :: v_dual_add_f32 v16, v152, v16
	s_delay_alu instid0(VALU_DEP_4) | instskip(SKIP_3) | instid1(VALU_DEP_4)
	v_dual_add_f32 v6, v9, v6 :: v_dual_fmamk_f32 v9, v104, 0xbf7ba420, v184
	v_fma_f32 v152, 0x3dbcf732, v104, -v156
	v_fmac_f32_e32 v159, 0x3f3d2fb0, v42
	v_mul_f32_e32 v58, 0xbf59a7d5, v63
	v_dual_add_f32 v144, v146, v144 :: v_dual_add_f32 v9, v9, v6
	v_add_f32_e32 v6, v10, v8
	v_dual_add_f32 v8, v187, v11 :: v_dual_mul_f32 v11, 0xbe3c28d5, v21
	v_mul_f32_e32 v187, 0x3f4c4adb, v115
	s_delay_alu instid0(VALU_DEP_4) | instskip(SKIP_1) | instid1(VALU_DEP_4)
	v_add_f32_e32 v9, v189, v9
	v_dual_mul_f32 v189, 0xbf763a35, v25 :: v_dual_add_f32 v152, v152, v16
	v_dual_fmamk_f32 v192, v98, 0xbf7ba420, v11 :: v_dual_add_f32 v153, v159, v153
	v_dual_fmac_f32 v168, 0xbf1a4643, v45 :: v_dual_add_f32 v139, v139, v144
	s_delay_alu instid0(VALU_DEP_2) | instskip(SKIP_3) | instid1(VALU_DEP_4)
	v_dual_fmamk_f32 v191, v119, 0xbe8c1d8e, v189 :: v_dual_add_f32 v192, v33, v192
	v_add_f32_e32 v14, v33, v14
	v_fmac_f32_e32 v174, 0xbf59a7d5, v38
	v_fmac_f32_e32 v173, 0x3f6eb680, v42
	v_add_f32_e32 v9, v191, v9
	v_dual_add_f32 v192, v195, v192 :: v_dual_fmamk_f32 v195, v62, 0xbf59a7d5, v196
	v_fma_f32 v178, 0x3dbcf732, v62, -v178
	v_add_f32_e32 v14, v15, v14
	v_fma_f32 v15, 0x3f6eb680, v62, -v164
	v_fmac_f32_e32 v181, 0x3ee437d1, v45
	v_dual_add_f32 v191, v195, v192 :: v_dual_fmamk_f32 v192, v109, 0x3f3d2fb0, v198
	v_mul_f32_e32 v195, 0xbf4c4adb, v19
	v_fma_f32 v180, 0xbf1a4643, v109, -v180
	v_dual_mul_f32 v207, 0xbf4c4adb, v107 :: v_dual_add_f32 v14, v15, v14
	s_delay_alu instid0(VALU_DEP_3)
	v_dual_add_f32 v191, v192, v191 :: v_dual_fmamk_f32 v192, v110, 0xbf1a4643, v195
	v_mul_f32_e32 v188, 0xbf7ee86f, v112
	v_fma_f32 v195, 0xbf1a4643, v110, -v195
	v_fma_f32 v15, 0xbf59a7d5, v109, -v166
	;; [unrolled: 1-line block ×3, first 2 shown]
	v_add_f32_e32 v191, v192, v191
	v_fma_f32 v10, 0x3dbcf732, v42, -v188
	v_fmamk_f32 v192, v104, 0x3ee437d1, v200
	v_mul_f32_e32 v194, 0xbe3c28d5, v113
	v_fmac_f32_e32 v188, 0x3dbcf732, v42
	v_add_f32_e32 v14, v15, v14
	s_delay_alu instid0(VALU_DEP_4) | instskip(SKIP_4) | instid1(VALU_DEP_4)
	v_dual_add_f32 v8, v10, v8 :: v_dual_add_f32 v191, v192, v191
	v_fma_f32 v10, 0xbf1a4643, v38, -v187
	v_dual_fmamk_f32 v192, v63, 0xbe8c1d8e, v204 :: v_dual_add_f32 v183, v32, v183
	v_fmac_f32_e32 v177, 0x3f3d2fb0, v37
	v_fmac_f32_e32 v176, 0x3dbcf732, v36
	v_add_f32_e32 v8, v10, v8
	v_fma_f32 v10, 0x3f6eb680, v36, -v190
	v_dual_add_f32 v191, v192, v191 :: v_dual_mul_f32 v192, 0x3f7ee86f, v25
	v_fma_f32 v196, 0xbf59a7d5, v62, -v196
	v_fmac_f32_e32 v150, 0x3dbcf732, v40
	s_delay_alu instid0(VALU_DEP_4) | instskip(SKIP_2) | instid1(VALU_DEP_4)
	v_add_f32_e32 v8, v10, v8
	v_fma_f32 v10, 0xbf7ba420, v37, -v194
	v_dual_fmac_f32 v194, 0xbf7ba420, v37 :: v_dual_add_f32 v139, v140, v139
	v_dual_add_f32 v146, v32, v150 :: v_dual_fmac_f32 v165, 0x3f6eb680, v39
	s_delay_alu instid0(VALU_DEP_3) | instskip(SKIP_2) | instid1(VALU_DEP_4)
	v_add_f32_e32 v8, v10, v8
	v_fma_f32 v10, 0x3f3d2fb0, v39, -v197
	v_fmac_f32_e32 v185, 0x3ee437d1, v41
	v_dual_fmac_f32 v197, 0x3f3d2fb0, v39 :: v_dual_add_f32 v144, v151, v146
	v_dual_fmac_f32 v145, 0x3f6eb680, v38 :: v_dual_add_f32 v136, v136, v139
	s_delay_alu instid0(VALU_DEP_4) | instskip(SKIP_3) | instid1(VALU_DEP_4)
	v_add_f32_e32 v8, v10, v8
	v_mul_f32_e32 v10, 0xbe3c28d5, v108
	v_fma_f32 v11, 0xbf7ba420, v98, -v11
	v_dual_add_f32 v183, v185, v183 :: v_dual_add_f32 v140, v143, v144
	v_add_f32_e32 v8, v201, v8
	s_delay_alu instid0(VALU_DEP_4) | instskip(NEXT) | instid1(VALU_DEP_4)
	v_fma_f32 v202, 0xbf7ba420, v40, -v10
	v_dual_fmac_f32 v10, 0xbf7ba420, v40 :: v_dual_add_f32 v11, v33, v11
	v_add_f32_e32 v120, v121, v120
	v_fma_f32 v121, 0xbf7ba420, v62, -v122
	s_delay_alu instid0(VALU_DEP_4) | instskip(NEXT) | instid1(VALU_DEP_4)
	v_add_f32_e32 v202, v32, v202
	v_dual_add_f32 v10, v32, v10 :: v_dual_add_f32 v139, v145, v140
	v_fmac_f32_e32 v148, 0xbf59a7d5, v37
	v_dual_add_f32 v122, v137, v136 :: v_dual_fmac_f32 v147, 0xbf1a4643, v39
	s_delay_alu instid0(VALU_DEP_3)
	v_add_f32_e32 v10, v203, v10
	v_fma_f32 v193, 0x3f6eb680, v61, -v193
	v_add_f32_e32 v201, v205, v202
	v_mul_f32_e32 v205, 0x3f2c7751, v115
	v_fma_f32 v136, 0xbf1a4643, v63, -v138
	v_fmac_f32_e32 v149, 0x3ee437d1, v36
	v_dual_add_f32 v193, v193, v11 :: v_dual_fmamk_f32 v208, v119, 0x3dbcf732, v192
	v_mul_f32_e32 v138, 0x3ee437d1, v63
	s_delay_alu instid0(VALU_DEP_3) | instskip(SKIP_1) | instid1(VALU_DEP_4)
	v_dual_add_f32 v122, v136, v122 :: v_dual_add_f32 v137, v149, v139
	v_fmac_f32_e32 v134, 0xbf1a4643, v41
	v_dual_add_f32 v193, v196, v193 :: v_dual_mul_f32 v206, 0xbf06c442, v112
	v_add_f32_e32 v11, v208, v191
	v_fma_f32 v196, 0x3f3d2fb0, v109, -v198
	v_mul_f32_e32 v198, 0xbf763a35, v116
	v_fmac_f32_e32 v199, 0xbe8c1d8e, v45
	v_fma_f32 v202, 0xbf59a7d5, v42, -v206
	v_fmac_f32_e32 v187, 0xbf1a4643, v38
	v_add_f32_e32 v193, v196, v193
	v_fma_f32 v196, 0xbe8c1d8e, v39, -v198
	s_delay_alu instid0(VALU_DEP_4) | instskip(SKIP_1) | instid1(VALU_DEP_4)
	v_dual_fmac_f32 v206, 0xbf59a7d5, v42 :: v_dual_add_f32 v201, v202, v201
	v_fma_f32 v202, 0x3f3d2fb0, v38, -v205
	v_add_f32_e32 v193, v195, v193
	v_fma_f32 v195, 0x3ee437d1, v104, -v200
	s_delay_alu instid0(VALU_DEP_4)
	v_add_f32_e32 v10, v206, v10
	v_fmac_f32_e32 v205, 0x3f3d2fb0, v38
	v_add_f32_e32 v201, v202, v201
	v_fma_f32 v202, 0xbf1a4643, v36, -v207
	v_dual_add_f32 v193, v195, v193 :: v_dual_fmac_f32 v198, 0xbe8c1d8e, v39
	v_fma_f32 v195, 0xbe8c1d8e, v63, -v204
	s_delay_alu instid0(VALU_DEP_3) | instskip(SKIP_4) | instid1(VALU_DEP_4)
	v_dual_add_f32 v200, v205, v10 :: v_dual_add_f32 v191, v202, v201
	v_fma_f32 v201, 0x3ee437d1, v37, -v209
	v_fmac_f32_e32 v190, 0x3f6eb680, v36
	v_dual_fmac_f32 v131, 0x3ee437d1, v40 :: v_dual_add_f32 v136, v148, v137
	v_add_f32_e32 v120, v121, v120
	v_add_f32_e32 v191, v201, v191
	v_mul_f32_e32 v201, 0x3f7ee86f, v118
	v_fma_f32 v192, 0x3dbcf732, v119, -v192
	v_fma_f32 v121, 0xbe8c1d8e, v109, -v124
	;; [unrolled: 1-line block ×3, first 2 shown]
	v_add_f32_e32 v191, v196, v191
	v_fma_f32 v196, 0x3dbcf732, v45, -v201
	v_add_f32_e32 v131, v32, v131
	v_dual_fmamk_f32 v140, v24, 0xbf65296c, v138 :: v_dual_add_f32 v97, v97, v33
	v_dual_add_f32 v120, v121, v120 :: v_dual_add_f32 v121, v124, v122
	s_delay_alu instid0(VALU_DEP_4) | instskip(SKIP_4) | instid1(VALU_DEP_4)
	v_dual_add_f32 v10, v196, v191 :: v_dual_add_f32 v191, v195, v193
	v_fma_f32 v195, 0x3ee437d1, v61, -v13
	v_fma_f32 v122, 0x3f6eb680, v104, -v125
	;; [unrolled: 1-line block ×3, first 2 shown]
	v_dual_mul_f32 v126, 0x3f3d2fb0, v98 :: v_dual_fmac_f32 v129, 0x3f3d2fb0, v36
	v_add_f32_e32 v12, v195, v12
	v_mul_f32_e32 v98, 0x3f6eb680, v98
	v_dual_add_f32 v120, v123, v120 :: v_dual_fmac_f32 v127, 0xbf7ba420, v42
	v_dual_add_f32 v123, v147, v136 :: v_dual_add_f32 v124, v134, v131
	s_delay_alu instid0(VALU_DEP_4) | instskip(NEXT) | instid1(VALU_DEP_3)
	v_dual_add_f32 v178, v178, v12 :: v_dual_fmac_f32 v141, 0x3f3d2fb0, v45
	v_add_f32_e32 v122, v122, v120
	v_mul_f32_e32 v134, 0xbf7ee86f, v111
	s_delay_alu instid0(VALU_DEP_4) | instskip(NEXT) | instid1(VALU_DEP_4)
	v_add_f32_e32 v124, v127, v124
	v_dual_add_f32 v178, v180, v178 :: v_dual_fmac_f32 v207, 0xbf1a4643, v36
	v_fma_f32 v180, 0x3f6eb680, v110, -v182
	v_dual_add_f32 v182, v188, v183 :: v_dual_fmac_f32 v209, 0x3ee437d1, v37
	v_add_f32_e32 v120, v141, v123
	s_delay_alu instid0(VALU_DEP_3)
	v_dual_fmamk_f32 v123, v21, 0x3f2c7751, v126 :: v_dual_add_f32 v178, v180, v178
	v_add_f32_e32 v13, v192, v191
	v_fma_f32 v180, 0xbf7ba420, v104, -v184
	v_add_f32_e32 v193, v207, v200
	v_add_f32_e32 v182, v187, v182
	v_fma_f32 v127, 0xbf59a7d5, v119, -v133
	v_fmamk_f32 v136, v41, 0x3dbcf732, v134
	s_delay_alu instid0(VALU_DEP_4) | instskip(NEXT) | instid1(VALU_DEP_4)
	v_dual_add_f32 v164, v180, v178 :: v_dual_add_f32 v191, v209, v193
	v_add_f32_e32 v180, v190, v182
	v_fma_f32 v178, 0x3f3d2fb0, v63, -v186
	v_fmac_f32_e32 v201, 0x3dbcf732, v45
	s_delay_alu instid0(VALU_DEP_4) | instskip(SKIP_1) | instid1(VALU_DEP_4)
	v_dual_fmac_f32 v126, 0xbf2c7751, v21 :: v_dual_add_f32 v191, v198, v191
	v_add_f32_e32 v122, v125, v122
	v_add_f32_e32 v164, v178, v164
	v_dual_add_f32 v178, v194, v180 :: v_dual_mul_f32 v125, 0x3dbcf732, v61
	v_dual_add_f32 v124, v128, v124 :: v_dual_mul_f32 v133, 0xbf1a4643, v62
	s_delay_alu instid0(VALU_DEP_3) | instskip(NEXT) | instid1(VALU_DEP_3)
	v_dual_add_f32 v15, v166, v164 :: v_dual_add_f32 v166, v167, v14
	v_add_f32_e32 v164, v197, v178
	v_fma_f32 v167, 0x3f3d2fb0, v104, -v170
	v_dual_fmac_f32 v169, 0xbf1a4643, v40 :: v_dual_add_f32 v128, v33, v123
	s_delay_alu instid0(VALU_DEP_3) | instskip(NEXT) | instid1(VALU_DEP_3)
	v_dual_fmac_f32 v135, 0x3f6eb680, v37 :: v_dual_add_f32 v14, v199, v164
	v_add_f32_e32 v164, v167, v166
	v_fma_f32 v166, 0xbf7ba420, v63, -v172
	s_delay_alu instid0(VALU_DEP_4) | instskip(SKIP_1) | instid1(VALU_DEP_3)
	v_add_f32_e32 v169, v32, v169
	v_dual_fmamk_f32 v131, v20, 0x3f7ee86f, v125 :: v_dual_add_f32 v124, v129, v124
	v_dual_add_f32 v123, v127, v122 :: v_dual_add_f32 v164, v166, v164
	s_delay_alu instid0(VALU_DEP_3) | instskip(SKIP_1) | instid1(VALU_DEP_4)
	v_add_f32_e32 v167, v171, v169
	v_fma_f32 v166, 0x3ee437d1, v119, -v175
	v_dual_add_f32 v122, v131, v128 :: v_dual_fmamk_f32 v127, v22, 0x3f4c4adb, v133
	s_delay_alu instid0(VALU_DEP_3) | instskip(NEXT) | instid1(VALU_DEP_3)
	v_dual_mul_f32 v128, 0xbf7ba420, v109 :: v_dual_add_f32 v167, v173, v167
	v_add_f32_e32 v17, v166, v164
	v_dual_add_f32 v124, v135, v124 :: v_dual_mul_f32 v131, 0xbf59a7d5, v110
	s_delay_alu instid0(VALU_DEP_4) | instskip(NEXT) | instid1(VALU_DEP_4)
	v_dual_mul_f32 v129, 0xbf2c7751, v108 :: v_dual_add_f32 v122, v127, v122
	v_dual_add_f32 v164, v174, v167 :: v_dual_fmamk_f32 v127, v23, 0x3e3c28d5, v128
	s_delay_alu instid0(VALU_DEP_3) | instskip(SKIP_2) | instid1(VALU_DEP_4)
	v_add_f32_e32 v124, v132, v124
	v_mul_f32_e32 v135, 0xbe8c1d8e, v104
	v_mul_f32_e32 v137, 0xbf4c4adb, v112
	v_dual_add_f32 v155, v176, v164 :: v_dual_add_f32 v122, v127, v122
	v_fmamk_f32 v127, v19, 0xbf06c442, v131
	v_mul_f32_e32 v141, 0x3f06c442, v107
	v_mul_f32_e32 v104, 0xbf1a4643, v104
	s_delay_alu instid0(VALU_DEP_4) | instskip(SKIP_3) | instid1(VALU_DEP_4)
	v_add_f32_e32 v154, v177, v155
	v_fma_f32 v155, 0x3f6eb680, v63, -v158
	v_dual_add_f32 v122, v127, v122 :: v_dual_fmamk_f32 v127, v18, 0xbf763a35, v135
	v_add_f32_e32 v59, v59, v97
	v_add_f32_e32 v154, v179, v154
	s_delay_alu instid0(VALU_DEP_4) | instskip(NEXT) | instid1(VALU_DEP_4)
	v_add_f32_e32 v152, v155, v152
	v_dual_fmamk_f32 v100, v18, 0x3f4c4adb, v104 :: v_dual_add_f32 v127, v127, v122
	v_add_f32_e32 v122, v130, v124
	s_delay_alu instid0(VALU_DEP_4)
	v_add_f32_e32 v16, v181, v154
	v_fma_f32 v154, 0xbf1a4643, v119, -v161
	v_add_f32_e32 v153, v160, v153
	v_fmamk_f32 v130, v36, 0xbf59a7d5, v141
	v_fmamk_f32 v132, v40, 0x3f3d2fb0, v129
	v_add_f32_e32 v124, v140, v127
	v_add_f32_e32 v152, v154, v152
	v_dual_add_f32 v153, v162, v153 :: v_dual_fmamk_f32 v140, v21, 0x3eb8f4ab, v98
	s_delay_alu instid0(VALU_DEP_4) | instskip(SKIP_1) | instid1(VALU_DEP_3)
	v_add_f32_e32 v132, v32, v132
	v_dual_add_f32 v56, v56, v59 :: v_dual_mul_f32 v59, 0xbeb8f4ab, v108
	v_add_f32_e32 v153, v163, v153
	v_mul_f32_e32 v142, 0x3f3d2fb0, v61
	v_mul_f32_e32 v139, 0xbe3c28d5, v115
	s_delay_alu instid0(VALU_DEP_4) | instskip(SKIP_1) | instid1(VALU_DEP_4)
	v_add_f32_e32 v55, v55, v56
	v_add_f32_e32 v140, v33, v140
	v_dual_add_f32 v150, v165, v153 :: v_dual_fmamk_f32 v143, v20, 0x3f2c7751, v142
	v_dual_mul_f32 v109, 0x3dbcf732, v109 :: v_dual_add_f32 v132, v136, v132
	s_delay_alu instid0(VALU_DEP_2) | instskip(NEXT) | instid1(VALU_DEP_3)
	v_dual_fmamk_f32 v136, v42, 0xbf1a4643, v137 :: v_dual_add_f32 v151, v168, v150
	v_dual_add_f32 v140, v143, v140 :: v_dual_fmamk_f32 v57, v40, 0x3f6eb680, v59
	v_mul_f32_e32 v144, 0x3ee437d1, v62
	s_delay_alu instid0(VALU_DEP_3) | instskip(SKIP_2) | instid1(VALU_DEP_4)
	v_add_f32_e32 v132, v136, v132
	v_fmamk_f32 v136, v38, 0xbf7ba420, v139
	v_dual_add_f32 v34, v54, v34 :: v_dual_fmac_f32 v125, 0xbf7ee86f, v20
	v_fmamk_f32 v143, v22, 0x3f65296c, v144
	v_add_f32_e32 v51, v51, v55
	s_delay_alu instid0(VALU_DEP_4) | instskip(NEXT) | instid1(VALU_DEP_4)
	v_dual_add_f32 v127, v136, v132 :: v_dual_mul_f32 v132, 0x3f763a35, v113
	v_dual_add_f32 v34, v52, v34 :: v_dual_fmac_f32 v131, 0x3f06c442, v19
	s_delay_alu instid0(VALU_DEP_3) | instskip(NEXT) | instid1(VALU_DEP_3)
	v_add_f32_e32 v51, v60, v51
	v_add_f32_e32 v61, v130, v127
	s_delay_alu instid0(VALU_DEP_4) | instskip(SKIP_3) | instid1(VALU_DEP_4)
	v_fmamk_f32 v127, v37, 0xbe8c1d8e, v132
	v_mul_f32_e32 v130, 0x3f65296c, v116
	v_add_f32_e32 v34, v53, v34
	v_dual_mul_f32 v110, 0xbe8c1d8e, v110 :: v_dual_add_f32 v47, v47, v51
	v_add_f32_e32 v61, v127, v61
	s_delay_alu instid0(VALU_DEP_3) | instskip(SKIP_2) | instid1(VALU_DEP_3)
	v_dual_fmamk_f32 v127, v39, 0x3ee437d1, v130 :: v_dual_add_f32 v34, v106, v34
	v_dual_fmac_f32 v138, 0x3f65296c, v24 :: v_dual_add_f32 v55, v32, v57
	v_mul_f32_e32 v57, 0xbf7ba420, v119
	v_dual_add_f32 v61, v127, v61 :: v_dual_mul_f32 v136, 0x3f6eb680, v119
	v_add_f32_e32 v127, v143, v140
	v_fmamk_f32 v140, v23, 0x3f7ee86f, v109
	v_add_f32_e32 v34, v105, v34
	v_fmamk_f32 v56, v24, 0x3f06c442, v58
	v_fmamk_f32 v62, v25, 0xbeb8f4ab, v136
	v_mul_f32_e32 v53, 0xbf7ee86f, v115
	v_dual_add_f32 v127, v140, v127 :: v_dual_fmamk_f32 v140, v19, 0x3f763a35, v110
	v_add_f32_e32 v34, v44, v34
	s_delay_alu instid0(VALU_DEP_4) | instskip(SKIP_1) | instid1(VALU_DEP_4)
	v_add_f32_e32 v62, v62, v124
	v_fmac_f32_e32 v142, 0xbf2c7751, v20
	v_dual_add_f32 v44, v33, v126 :: v_dual_add_f32 v97, v140, v127
	s_delay_alu instid0(VALU_DEP_4) | instskip(SKIP_1) | instid1(VALU_DEP_3)
	v_add_f32_e32 v34, v50, v34
	v_dual_add_f32 v60, v117, v47 :: v_dual_fmac_f32 v133, 0xbf4c4adb, v22
	v_dual_add_f32 v44, v125, v44 :: v_dual_add_f32 v63, v100, v97
	s_delay_alu instid0(VALU_DEP_3) | instskip(SKIP_1) | instid1(VALU_DEP_3)
	v_dual_mul_f32 v97, 0xbf2c7751, v111 :: v_dual_add_f32 v34, v48, v34
	v_fmac_f32_e32 v128, 0xbe3c28d5, v23
	v_dual_fmac_f32 v135, 0x3f763a35, v18 :: v_dual_add_f32 v54, v56, v63
	s_delay_alu instid0(VALU_DEP_3) | instskip(SKIP_3) | instid1(VALU_DEP_4)
	v_dual_fmamk_f32 v56, v41, 0x3f3d2fb0, v97 :: v_dual_add_f32 v27, v27, v34
	v_mul_f32_e32 v124, 0x3eb8f4ab, v118
	v_mul_f32_e32 v52, 0xbf65296c, v112
	v_fmac_f32_e32 v109, 0xbf7ee86f, v23
	v_add_f32_e32 v55, v56, v55
	v_add_f32_e32 v27, v29, v27
	v_fmamk_f32 v143, v45, 0x3f6eb680, v124
	v_fmamk_f32 v51, v42, 0x3ee437d1, v52
	v_fmac_f32_e32 v98, 0xbeb8f4ab, v21
	v_fma_f32 v21, 0x3f6eb680, v40, -v59
	s_delay_alu instid0(VALU_DEP_4) | instskip(SKIP_2) | instid1(VALU_DEP_4)
	v_dual_fmac_f32 v144, 0xbf65296c, v22 :: v_dual_add_f32 v61, v143, v61
	v_fmac_f32_e32 v136, 0x3eb8f4ab, v25
	v_dual_add_f32 v44, v133, v44 :: v_dual_add_f32 v51, v51, v55
	v_dual_fmamk_f32 v55, v38, 0x3dbcf732, v53 :: v_dual_add_f32 v20, v32, v21
	v_fma_f32 v21, 0x3f3d2fb0, v41, -v97
	s_delay_alu instid0(VALU_DEP_3) | instskip(NEXT) | instid1(VALU_DEP_3)
	v_add_f32_e32 v34, v128, v44
	v_dual_fmamk_f32 v56, v25, 0x3e3c28d5, v57 :: v_dual_add_f32 v51, v55, v51
	s_delay_alu instid0(VALU_DEP_3) | instskip(NEXT) | instid1(VALU_DEP_3)
	v_dual_mul_f32 v55, 0xbf763a35, v107 :: v_dual_add_f32 v20, v21, v20
	v_add_f32_e32 v29, v131, v34
	s_delay_alu instid0(VALU_DEP_3)
	v_dual_add_f32 v47, v56, v54 :: v_dual_add_f32 v54, v114, v60
	v_fma_f32 v21, 0x3ee437d1, v42, -v52
	v_fmac_f32_e32 v110, 0xbf763a35, v19
	v_mul_f32_e32 v48, 0xbf06c442, v116
	v_fma_f32 v23, 0xbf59a7d5, v36, -v141
	v_add_f32_e32 v46, v46, v54
	v_fmamk_f32 v54, v36, 0xbe8c1d8e, v55
	v_add_f32_e32 v20, v21, v20
	v_fma_f32 v21, 0x3dbcf732, v38, -v53
	s_delay_alu instid0(VALU_DEP_4) | instskip(SKIP_1) | instid1(VALU_DEP_3)
	v_dual_mul_f32 v56, 0xbf4c4adb, v113 :: v_dual_add_f32 v43, v43, v46
	v_fmac_f32_e32 v104, 0xbf4c4adb, v18
	v_dual_mul_f32 v44, 0xbe3c28d5, v118 :: v_dual_add_f32 v19, v21, v20
	v_fma_f32 v20, 0xbe8c1d8e, v36, -v55
	s_delay_alu instid0(VALU_DEP_4) | instskip(SKIP_1) | instid1(VALU_DEP_3)
	v_add_f32_e32 v43, v49, v43
	v_dual_add_f32 v29, v135, v29 :: v_dual_fmac_f32 v58, 0xbf06c442, v24
	v_dual_fmac_f32 v57, 0xbe3c28d5, v25 :: v_dual_add_f32 v18, v20, v19
	s_delay_alu instid0(VALU_DEP_3)
	v_add_f32_e32 v35, v35, v43
	v_fma_f32 v19, 0xbf1a4643, v37, -v56
	v_fmamk_f32 v43, v39, 0xbf59a7d5, v48
	v_add_f32_e32 v29, v138, v29
	v_fma_f32 v24, 0xbf7ba420, v45, -v44
	v_add_f32_e32 v26, v26, v35
	v_add_f32_e32 v18, v19, v18
	v_fma_f32 v19, 0xbf59a7d5, v39, -v48
	v_fmamk_f32 v35, v45, 0xbf7ba420, v44
	v_lshl_add_u32 v25, v101, 3, v103
	v_add_f32_e32 v26, v28, v26
	v_dual_add_f32 v28, v31, v27 :: v_dual_add_f32 v31, v33, v98
	v_add_f32_e32 v46, v54, v51
	s_delay_alu instid0(VALU_DEP_3) | instskip(NEXT) | instid1(VALU_DEP_3)
	v_dual_add_f32 v12, v201, v191 :: v_dual_add_f32 v27, v30, v26
	v_add_f32_e32 v26, v99, v28
	v_fma_f32 v28, 0x3f3d2fb0, v40, -v129
	v_fma_f32 v30, 0x3dbcf732, v41, -v134
	s_delay_alu instid0(VALU_DEP_2) | instskip(NEXT) | instid1(VALU_DEP_1)
	v_dual_add_f32 v31, v142, v31 :: v_dual_add_f32 v28, v32, v28
	v_add_f32_e32 v28, v30, v28
	v_fma_f32 v30, 0xbf1a4643, v42, -v137
	s_delay_alu instid0(VALU_DEP_1) | instskip(SKIP_2) | instid1(VALU_DEP_2)
	v_add_f32_e32 v22, v30, v28
	v_fma_f32 v28, 0xbf7ba420, v38, -v139
	v_add_f32_e32 v30, v144, v31
	v_add_f32_e32 v22, v28, v22
	s_delay_alu instid0(VALU_DEP_2) | instskip(NEXT) | instid1(VALU_DEP_2)
	v_add_f32_e32 v28, v109, v30
	v_dual_fmamk_f32 v50, v37, 0xbf1a4643, v56 :: v_dual_add_f32 v21, v23, v22
	s_delay_alu instid0(VALU_DEP_2) | instskip(SKIP_1) | instid1(VALU_DEP_1)
	v_add_f32_e32 v23, v110, v28
	v_fma_f32 v22, 0xbe8c1d8e, v37, -v132
	v_add_f32_e32 v20, v22, v21
	s_delay_alu instid0(VALU_DEP_3) | instskip(SKIP_2) | instid1(VALU_DEP_3)
	v_dual_add_f32 v22, v104, v23 :: v_dual_add_f32 v23, v19, v18
	v_add_f32_e32 v46, v50, v46
	v_fma_f32 v21, 0x3ee437d1, v39, -v130
	v_dual_add_f32 v19, v136, v29 :: v_dual_add_f32 v22, v58, v22
	s_delay_alu instid0(VALU_DEP_3) | instskip(NEXT) | instid1(VALU_DEP_3)
	v_add_f32_e32 v34, v43, v46
	v_add_f32_e32 v20, v21, v20
	v_fma_f32 v21, 0x3f6eb680, v45, -v124
	s_delay_alu instid0(VALU_DEP_3)
	v_add_f32_e32 v46, v35, v34
	ds_store_b64 v102, v[26:27]
	ds_store_2addr_b64 v25, v[46:47], v[61:62] offset0:16 offset1:32
	ds_store_2addr_b64 v25, v[122:123], v[120:121] offset0:48 offset1:64
	;; [unrolled: 1-line block ×3, first 2 shown]
	v_add_f32_e32 v18, v21, v20
	v_dual_add_f32 v21, v57, v22 :: v_dual_add_f32 v20, v24, v23
	v_add_nc_u32_e32 v16, 0x400, v25
	ds_store_2addr_b64 v25, v[14:15], v[12:13] offset0:112 offset1:128
	ds_store_2addr_b64 v25, v[10:11], v[8:9] offset0:144 offset1:160
	;; [unrolled: 1-line block ×5, first 2 shown]
.LBB0_9:
	s_wait_alu 0xfffe
	s_or_b32 exec_lo, exec_lo, s4
	global_wb scope:SCOPE_SE
	s_wait_dscnt 0x0
	s_barrier_signal -1
	s_barrier_wait -1
	global_inv scope:SCOPE_SE
	ds_load_2addr_b64 v[0:3], v102 offset1:17
	ds_load_2addr_b64 v[4:7], v102 offset0:34 offset1:51
	ds_load_2addr_b64 v[8:11], v102 offset0:68 offset1:85
	;; [unrolled: 1-line block ×6, first 2 shown]
	v_mad_co_u64_u32 v[32:33], null, s2, v64, 0
	v_mad_co_u64_u32 v[34:35], null, s0, v101, 0
	s_mov_b32 s6, 0x1e1e1e1e
	s_mov_b32 s7, 0x3f6e1e1e
	ds_load_2addr_b64 v[28:31], v102 offset0:238 offset1:255
	s_mul_u64 s[4:5], s[0:1], 0x88
	s_wait_dscnt 0x5
	v_dual_mul_f32 v43, v72, v6 :: v_dual_mul_f32 v48, v74, v11
	s_wait_dscnt 0x4
	v_mul_f32_e32 v50, v78, v13
	v_dual_mul_f32 v41, v70, v4 :: v_dual_mul_f32 v44, v76, v9
	v_mul_f32_e32 v37, v68, v1
	v_mul_f32_e32 v36, v68, v0
	;; [unrolled: 1-line block ×5, first 2 shown]
	v_fmac_f32_e32 v37, v67, v0
	v_fma_f32 v38, v67, v1, -v36
	v_mad_co_u64_u32 v[0:1], null, s3, v64, v[33:34]
	v_mul_f32_e32 v1, v66, v3
	v_mad_co_u64_u32 v[35:36], null, s1, v101, v[35:36]
	v_cvt_f64_f32_e32 v[36:37], v37
	v_cvt_f64_f32_e32 v[38:39], v38
	v_mul_f32_e32 v33, v66, v2
	s_wait_dscnt 0x3
	v_dual_mul_f32 v55, v84, v16 :: v_dual_fmac_f32 v42, v71, v6
	v_dual_fmac_f32 v1, v65, v2 :: v_dual_fmac_f32 v44, v75, v8
	s_delay_alu instid0(VALU_DEP_3)
	v_fma_f32 v3, v65, v3, -v33
	v_fmac_f32_e32 v40, v69, v4
	v_fma_f32 v43, v71, v7, -v43
	v_dual_mul_f32 v45, v76, v8 :: v_dual_mul_f32 v56, v86, v19
	v_fma_f32 v33, v69, v5, -v41
	v_cvt_f64_f32_e32 v[1:2], v1
	v_cvt_f64_f32_e32 v[3:4], v3
	v_cvt_f64_f32_e32 v[5:6], v40
	v_cvt_f64_f32_e32 v[40:41], v42
	v_cvt_f64_f32_e32 v[42:43], v43
	v_fma_f32 v9, v75, v9, -v45
	v_cvt_f64_f32_e32 v[7:8], v33
	v_cvt_f64_f32_e32 v[44:45], v44
	s_wait_dscnt 0x2
	v_dual_mul_f32 v59, v88, v20 :: v_dual_mul_f32 v60, v90, v23
	v_cvt_f64_f32_e32 v[46:47], v9
	v_dual_mul_f32 v51, v78, v12 :: v_dual_mul_f32 v54, v84, v17
	v_dual_mul_f32 v49, v74, v10 :: v_dual_mul_f32 v52, v80, v15
	;; [unrolled: 1-line block ×3, first 2 shown]
	s_wait_dscnt 0x1
	v_dual_mul_f32 v9, v90, v22 :: v_dual_mul_f32 v62, v96, v24
	s_wait_dscnt 0x0
	v_dual_mul_f32 v65, v92, v29 :: v_dual_fmac_f32 v50, v77, v12
	v_fma_f32 v59, v87, v21, -v59
	v_dual_fmac_f32 v60, v89, v22 :: v_dual_mul_f32 v63, v82, v27
	v_fmac_f32_e32 v48, v73, v10
	v_mul_f64_e32 v[36:37], s[6:7], v[36:37]
	v_mul_f64_e32 v[38:39], s[6:7], v[38:39]
	v_dual_mov_b32 v33, v0 :: v_dual_fmac_f32 v52, v79, v14
	v_fma_f32 v53, v79, v15, -v53
	v_dual_fmac_f32 v54, v83, v16 :: v_dual_fmac_f32 v63, v81, v26
	v_fma_f32 v51, v77, v13, -v51
	v_dual_mul_f32 v61, v96, v25 :: v_dual_mul_f32 v64, v82, v26
	v_fma_f32 v55, v83, v17, -v55
	v_fmac_f32_e32 v56, v85, v18
	v_fma_f32 v57, v85, v19, -v57
	s_delay_alu instid0(VALU_DEP_4)
	v_fmac_f32_e32 v61, v95, v24
	v_mul_f64_e32 v[0:1], s[6:7], v[1:2]
	v_mul_f64_e32 v[2:3], s[6:7], v[3:4]
	;; [unrolled: 1-line block ×7, first 2 shown]
	v_fmac_f32_e32 v58, v87, v20
	v_fma_f32 v66, v89, v23, -v9
	v_mul_f64_e32 v[19:20], s[6:7], v[46:47]
	v_lshlrev_b64_e32 v[9:10], 3, v[32:33]
	v_fma_f32 v49, v73, v11, -v49
	v_lshlrev_b64_e32 v[11:12], 3, v[34:35]
	v_fma_f32 v62, v95, v25, -v62
	v_cvt_f64_f32_e32 v[23:24], v48
	v_cvt_f64_f32_e32 v[32:33], v50
	;; [unrolled: 1-line block ×4, first 2 shown]
	v_add_co_u32 v58, vcc_lo, s8, v9
	v_cvt_f64_f32_e32 v[34:35], v51
	v_cvt_f64_f32_e32 v[50:51], v59
	s_wait_alu 0xfffd
	v_add_co_ci_u32_e32 v59, vcc_lo, s9, v10, vcc_lo
	v_cvt_f32_f64_e32 v21, v[36:37]
	v_cvt_f32_f64_e32 v22, v[38:39]
	v_add_co_u32 v10, vcc_lo, v58, v11
	s_wait_alu 0xfffd
	v_add_co_ci_u32_e32 v11, vcc_lo, v59, v12, vcc_lo
	v_cvt_f64_f32_e32 v[36:37], v52
	v_cvt_f64_f32_e32 v[38:39], v53
	;; [unrolled: 1-line block ×6, first 2 shown]
	v_fmac_f32_e32 v65, v91, v28
	v_cvt_f64_f32_e32 v[52:53], v60
	s_wait_alu 0xfffe
	v_add_co_u32 v60, vcc_lo, v10, s4
	v_cvt_f64_f32_e32 v[56:57], v61
	s_wait_alu 0xfffd
	v_add_co_ci_u32_e32 v61, vcc_lo, s5, v11, vcc_lo
	v_cvt_f32_f64_e32 v0, v[0:1]
	v_cvt_f32_f64_e32 v1, v[2:3]
	v_cvt_f32_f64_e32 v2, v[4:5]
	v_cvt_f32_f64_e32 v5, v[15:16]
	v_mul_f32_e32 v16, v94, v31
	v_fma_f32 v12, v81, v27, -v64
	v_cvt_f32_f64_e32 v3, v[6:7]
	v_cvt_f32_f64_e32 v4, v[13:14]
	;; [unrolled: 1-line block ×3, first 2 shown]
	v_fmac_f32_e32 v16, v93, v30
	v_cvt_f64_f32_e32 v[54:55], v66
	v_cvt_f32_f64_e32 v7, v[19:20]
	v_cvt_f64_f32_e32 v[8:9], v62
	v_cvt_f64_f32_e32 v[58:59], v63
	;; [unrolled: 1-line block ×3, first 2 shown]
	global_store_b64 v[10:11], v[21:22], off
	v_dual_mul_f32 v11, v94, v30 :: v_dual_mul_f32 v10, v92, v28
	v_mul_f64_e32 v[20:21], s[6:7], v[23:24]
	v_add_co_u32 v24, vcc_lo, v60, s4
	s_delay_alu instid0(VALU_DEP_3) | instskip(NEXT) | instid1(VALU_DEP_4)
	v_fma_f32 v18, v93, v31, -v11
	v_fma_f32 v14, v91, v29, -v10
	v_cvt_f64_f32_e32 v[10:11], v12
	v_cvt_f64_f32_e32 v[12:13], v65
	v_mul_f64_e32 v[22:23], s[6:7], v[25:26]
	v_cvt_f64_f32_e32 v[18:19], v18
	v_cvt_f64_f32_e32 v[14:15], v14
	s_wait_alu 0xfffd
	v_add_co_ci_u32_e32 v25, vcc_lo, s5, v61, vcc_lo
	v_add_co_u32 v30, vcc_lo, v24, s4
	v_mul_f64_e32 v[26:27], s[6:7], v[32:33]
	v_mul_f64_e32 v[28:29], s[6:7], v[34:35]
	s_wait_alu 0xfffd
	v_add_co_ci_u32_e32 v31, vcc_lo, s5, v25, vcc_lo
	v_mul_f64_e32 v[32:33], s[6:7], v[36:37]
	v_mul_f64_e32 v[34:35], s[6:7], v[38:39]
	;; [unrolled: 1-line block ×6, first 2 shown]
	v_add_co_u32 v36, vcc_lo, v30, s4
	s_wait_alu 0xfffd
	v_add_co_ci_u32_e32 v37, vcc_lo, s5, v31, vcc_lo
	s_clause 0x3
	global_store_b64 v[60:61], v[0:1], off
	global_store_b64 v[24:25], v[2:3], off
	global_store_b64 v[30:31], v[4:5], off
	global_store_b64 v[36:37], v[6:7], off
	v_mul_f64_e32 v[0:1], s[6:7], v[48:49]
	v_mul_f64_e32 v[2:3], s[6:7], v[50:51]
	;; [unrolled: 1-line block ×8, first 2 shown]
	v_cvt_f32_f64_e32 v20, v[20:21]
	v_mul_f64_e32 v[10:11], s[6:7], v[10:11]
	v_mul_f64_e32 v[12:13], s[6:7], v[12:13]
	v_cvt_f32_f64_e32 v21, v[22:23]
	v_mul_f64_e32 v[18:19], s[6:7], v[18:19]
	v_mul_f64_e32 v[14:15], s[6:7], v[14:15]
	v_add_co_u32 v22, vcc_lo, v36, s4
	s_wait_alu 0xfffd
	v_add_co_ci_u32_e32 v23, vcc_lo, s5, v37, vcc_lo
	v_cvt_f32_f64_e32 v26, v[26:27]
	v_cvt_f32_f64_e32 v27, v[28:29]
	v_add_co_u32 v28, vcc_lo, v22, s4
	s_wait_alu 0xfffd
	v_add_co_ci_u32_e32 v29, vcc_lo, s5, v23, vcc_lo
	v_cvt_f32_f64_e32 v32, v[32:33]
	v_cvt_f32_f64_e32 v33, v[34:35]
	;; [unrolled: 1-line block ×6, first 2 shown]
	v_add_co_u32 v34, vcc_lo, v28, s4
	s_wait_alu 0xfffd
	v_add_co_ci_u32_e32 v35, vcc_lo, s5, v29, vcc_lo
	v_cvt_f32_f64_e32 v0, v[0:1]
	v_cvt_f32_f64_e32 v1, v[2:3]
	v_add_co_u32 v40, vcc_lo, v34, s4
	v_cvt_f32_f64_e32 v2, v[4:5]
	v_cvt_f32_f64_e32 v3, v[6:7]
	;; [unrolled: 1-line block ×4, first 2 shown]
	s_wait_alu 0xfffd
	v_add_co_ci_u32_e32 v41, vcc_lo, s5, v35, vcc_lo
	v_cvt_f32_f64_e32 v6, v[30:31]
	v_cvt_f32_f64_e32 v7, v[10:11]
	;; [unrolled: 1-line block ×6, first 2 shown]
	v_add_co_u32 v12, vcc_lo, v40, s4
	s_wait_alu 0xfffd
	v_add_co_ci_u32_e32 v13, vcc_lo, s5, v41, vcc_lo
	global_store_b64 v[22:23], v[20:21], off
	v_add_co_u32 v14, vcc_lo, v12, s4
	s_wait_alu 0xfffd
	v_add_co_ci_u32_e32 v15, vcc_lo, s5, v13, vcc_lo
	global_store_b64 v[28:29], v[26:27], off
	;; [unrolled: 4-line block ×7, first 2 shown]
	global_store_b64 v[18:19], v[4:5], off
	global_store_b64 v[20:21], v[6:7], off
	;; [unrolled: 1-line block ×4, first 2 shown]
.LBB0_10:
	s_nop 0
	s_sendmsg sendmsg(MSG_DEALLOC_VGPRS)
	s_endpgm
	.section	.rodata,"a",@progbits
	.p2align	6, 0x0
	.amdhsa_kernel bluestein_single_fwd_len272_dim1_sp_op_CI_CI
		.amdhsa_group_segment_fixed_size 15232
		.amdhsa_private_segment_fixed_size 0
		.amdhsa_kernarg_size 104
		.amdhsa_user_sgpr_count 2
		.amdhsa_user_sgpr_dispatch_ptr 0
		.amdhsa_user_sgpr_queue_ptr 0
		.amdhsa_user_sgpr_kernarg_segment_ptr 1
		.amdhsa_user_sgpr_dispatch_id 0
		.amdhsa_user_sgpr_private_segment_size 0
		.amdhsa_wavefront_size32 1
		.amdhsa_uses_dynamic_stack 0
		.amdhsa_enable_private_segment 0
		.amdhsa_system_sgpr_workgroup_id_x 1
		.amdhsa_system_sgpr_workgroup_id_y 0
		.amdhsa_system_sgpr_workgroup_id_z 0
		.amdhsa_system_sgpr_workgroup_info 0
		.amdhsa_system_vgpr_workitem_id 0
		.amdhsa_next_free_vgpr 210
		.amdhsa_next_free_sgpr 20
		.amdhsa_reserve_vcc 1
		.amdhsa_float_round_mode_32 0
		.amdhsa_float_round_mode_16_64 0
		.amdhsa_float_denorm_mode_32 3
		.amdhsa_float_denorm_mode_16_64 3
		.amdhsa_fp16_overflow 0
		.amdhsa_workgroup_processor_mode 1
		.amdhsa_memory_ordered 1
		.amdhsa_forward_progress 0
		.amdhsa_round_robin_scheduling 0
		.amdhsa_exception_fp_ieee_invalid_op 0
		.amdhsa_exception_fp_denorm_src 0
		.amdhsa_exception_fp_ieee_div_zero 0
		.amdhsa_exception_fp_ieee_overflow 0
		.amdhsa_exception_fp_ieee_underflow 0
		.amdhsa_exception_fp_ieee_inexact 0
		.amdhsa_exception_int_div_zero 0
	.end_amdhsa_kernel
	.text
.Lfunc_end0:
	.size	bluestein_single_fwd_len272_dim1_sp_op_CI_CI, .Lfunc_end0-bluestein_single_fwd_len272_dim1_sp_op_CI_CI
                                        ; -- End function
	.section	.AMDGPU.csdata,"",@progbits
; Kernel info:
; codeLenInByte = 17804
; NumSgprs: 22
; NumVgprs: 210
; ScratchSize: 0
; MemoryBound: 0
; FloatMode: 240
; IeeeMode: 1
; LDSByteSize: 15232 bytes/workgroup (compile time only)
; SGPRBlocks: 2
; VGPRBlocks: 26
; NumSGPRsForWavesPerEU: 22
; NumVGPRsForWavesPerEU: 210
; Occupancy: 7
; WaveLimiterHint : 1
; COMPUTE_PGM_RSRC2:SCRATCH_EN: 0
; COMPUTE_PGM_RSRC2:USER_SGPR: 2
; COMPUTE_PGM_RSRC2:TRAP_HANDLER: 0
; COMPUTE_PGM_RSRC2:TGID_X_EN: 1
; COMPUTE_PGM_RSRC2:TGID_Y_EN: 0
; COMPUTE_PGM_RSRC2:TGID_Z_EN: 0
; COMPUTE_PGM_RSRC2:TIDIG_COMP_CNT: 0
	.text
	.p2alignl 7, 3214868480
	.fill 96, 4, 3214868480
	.type	__hip_cuid_8b6fd4fe2b2dc803,@object ; @__hip_cuid_8b6fd4fe2b2dc803
	.section	.bss,"aw",@nobits
	.globl	__hip_cuid_8b6fd4fe2b2dc803
__hip_cuid_8b6fd4fe2b2dc803:
	.byte	0                               ; 0x0
	.size	__hip_cuid_8b6fd4fe2b2dc803, 1

	.ident	"AMD clang version 19.0.0git (https://github.com/RadeonOpenCompute/llvm-project roc-6.4.0 25133 c7fe45cf4b819c5991fe208aaa96edf142730f1d)"
	.section	".note.GNU-stack","",@progbits
	.addrsig
	.addrsig_sym __hip_cuid_8b6fd4fe2b2dc803
	.amdgpu_metadata
---
amdhsa.kernels:
  - .args:
      - .actual_access:  read_only
        .address_space:  global
        .offset:         0
        .size:           8
        .value_kind:     global_buffer
      - .actual_access:  read_only
        .address_space:  global
        .offset:         8
        .size:           8
        .value_kind:     global_buffer
      - .actual_access:  read_only
        .address_space:  global
        .offset:         16
        .size:           8
        .value_kind:     global_buffer
      - .actual_access:  read_only
        .address_space:  global
        .offset:         24
        .size:           8
        .value_kind:     global_buffer
      - .actual_access:  read_only
        .address_space:  global
        .offset:         32
        .size:           8
        .value_kind:     global_buffer
      - .offset:         40
        .size:           8
        .value_kind:     by_value
      - .address_space:  global
        .offset:         48
        .size:           8
        .value_kind:     global_buffer
      - .address_space:  global
        .offset:         56
        .size:           8
        .value_kind:     global_buffer
      - .address_space:  global
        .offset:         64
        .size:           8
        .value_kind:     global_buffer
      - .address_space:  global
        .offset:         72
        .size:           8
        .value_kind:     global_buffer
      - .offset:         80
        .size:           4
        .value_kind:     by_value
      - .address_space:  global
        .offset:         88
        .size:           8
        .value_kind:     global_buffer
      - .address_space:  global
        .offset:         96
        .size:           8
        .value_kind:     global_buffer
    .group_segment_fixed_size: 15232
    .kernarg_segment_align: 8
    .kernarg_segment_size: 104
    .language:       OpenCL C
    .language_version:
      - 2
      - 0
    .max_flat_workgroup_size: 119
    .name:           bluestein_single_fwd_len272_dim1_sp_op_CI_CI
    .private_segment_fixed_size: 0
    .sgpr_count:     22
    .sgpr_spill_count: 0
    .symbol:         bluestein_single_fwd_len272_dim1_sp_op_CI_CI.kd
    .uniform_work_group_size: 1
    .uses_dynamic_stack: false
    .vgpr_count:     210
    .vgpr_spill_count: 0
    .wavefront_size: 32
    .workgroup_processor_mode: 1
amdhsa.target:   amdgcn-amd-amdhsa--gfx1201
amdhsa.version:
  - 1
  - 2
...

	.end_amdgpu_metadata
